;; amdgpu-corpus repo=ROCm/rocFFT kind=compiled arch=gfx1030 opt=O3
	.text
	.amdgcn_target "amdgcn-amd-amdhsa--gfx1030"
	.amdhsa_code_object_version 6
	.protected	bluestein_single_fwd_len468_dim1_dp_op_CI_CI ; -- Begin function bluestein_single_fwd_len468_dim1_dp_op_CI_CI
	.globl	bluestein_single_fwd_len468_dim1_dp_op_CI_CI
	.p2align	8
	.type	bluestein_single_fwd_len468_dim1_dp_op_CI_CI,@function
bluestein_single_fwd_len468_dim1_dp_op_CI_CI: ; @bluestein_single_fwd_len468_dim1_dp_op_CI_CI
; %bb.0:
	s_mov_b64 s[50:51], s[2:3]
	s_mov_b64 s[48:49], s[0:1]
	s_load_dwordx4 s[0:3], s[4:5], 0x28
	v_mul_u32_u24_e32 v1, 0x4ed, v0
	v_mov_b32_e32 v137, 0
	s_add_u32 s48, s48, s7
	s_addc_u32 s49, s49, 0
	v_lshrrev_b32_e32 v1, 16, v1
	v_add_nc_u32_e32 v136, s6, v1
	s_waitcnt lgkmcnt(0)
	v_cmp_gt_u64_e32 vcc_lo, s[0:1], v[136:137]
	s_and_saveexec_b32 s0, vcc_lo
	s_cbranch_execz .LBB0_23
; %bb.1:
	s_clause 0x1
	s_load_dwordx2 s[14:15], s[4:5], 0x0
	s_load_dwordx2 s[12:13], s[4:5], 0x38
	v_mul_lo_u16 v1, v1, 52
	v_sub_nc_u16 v0, v0, v1
	v_and_b32_e32 v254, 0xffff, v0
	v_cmp_gt_u16_e32 vcc_lo, 36, v0
	v_lshlrev_b32_e32 v253, 4, v254
	s_and_saveexec_b32 s1, vcc_lo
	s_cbranch_execz .LBB0_3
; %bb.2:
	s_load_dwordx2 s[6:7], s[4:5], 0x18
	s_waitcnt lgkmcnt(0)
	v_add_co_u32 v22, s0, s14, v253
	v_add_co_ci_u32_e64 v23, null, s15, 0, s0
	v_add_co_u32 v28, s0, 0x800, v22
	v_add_co_ci_u32_e64 v29, s0, 0, v23, s0
	v_add_co_u32 v40, s0, 0x1000, v22
	v_add_co_ci_u32_e64 v41, s0, 0, v23, s0
	;; [unrolled: 2-line block ×3, first 2 shown]
	s_load_dwordx4 s[8:11], s[6:7], 0x0
	s_clause 0x3
	global_load_dwordx4 v[0:3], v253, s[14:15]
	global_load_dwordx4 v[4:7], v253, s[14:15] offset:576
	global_load_dwordx4 v[8:11], v253, s[14:15] offset:1152
	;; [unrolled: 1-line block ×3, first 2 shown]
	s_waitcnt lgkmcnt(0)
	v_mad_u64_u32 v[24:25], null, s8, v254, 0
	v_mad_u64_u32 v[16:17], null, s10, v136, 0
	s_mul_i32 s6, s9, 0x240
	s_mul_hi_u32 s7, s8, 0x240
	s_add_i32 s7, s7, s6
	v_mov_b32_e32 v18, v25
	v_mad_u64_u32 v[19:20], null, s11, v136, v[17:18]
	v_mad_u64_u32 v[20:21], null, s9, v254, v[18:19]
	v_mov_b32_e32 v17, v19
	v_lshlrev_b64 v[26:27], 4, v[16:17]
	v_mov_b32_e32 v25, v20
	s_clause 0x1
	global_load_dwordx4 v[16:19], v[28:29], off offset:256
	global_load_dwordx4 v[20:23], v[28:29], off offset:832
	v_add_co_u32 v26, s0, s2, v26
	v_lshlrev_b64 v[24:25], 4, v[24:25]
	v_add_co_ci_u32_e64 v27, s0, s3, v27, s0
	s_mul_i32 s2, s8, 0x240
	v_add_co_u32 v44, s0, v26, v24
	v_add_co_ci_u32_e64 v45, s0, v27, v25, s0
	s_clause 0x1
	global_load_dwordx4 v[24:27], v[28:29], off offset:1408
	global_load_dwordx4 v[28:31], v[28:29], off offset:1984
	v_add_co_u32 v48, s0, v44, s2
	v_add_co_ci_u32_e64 v49, s0, s7, v45, s0
	s_clause 0x1
	global_load_dwordx4 v[32:35], v[40:41], off offset:512
	global_load_dwordx4 v[36:39], v[40:41], off offset:1088
	v_add_co_u32 v52, s0, v48, s2
	v_add_co_ci_u32_e64 v53, s0, s7, v49, s0
	global_load_dwordx4 v[40:43], v[40:41], off offset:1664
	v_add_co_u32 v56, s0, v52, s2
	v_add_co_ci_u32_e64 v57, s0, s7, v53, s0
	s_clause 0x1
	global_load_dwordx4 v[44:47], v[44:45], off
	global_load_dwordx4 v[48:51], v[48:49], off
	v_add_co_u32 v60, s0, v56, s2
	v_add_co_ci_u32_e64 v61, s0, s7, v57, s0
	s_clause 0x1
	global_load_dwordx4 v[52:55], v[52:53], off
	global_load_dwordx4 v[56:59], v[56:57], off
	v_add_co_u32 v64, s0, v60, s2
	v_add_co_ci_u32_e64 v65, s0, s7, v61, s0
	global_load_dwordx4 v[60:63], v[60:61], off
	v_add_co_u32 v68, s0, v64, s2
	v_add_co_ci_u32_e64 v69, s0, s7, v65, s0
	;; [unrolled: 3-line block ×7, first 2 shown]
	v_add_co_u32 v100, s0, v88, s2
	v_add_co_ci_u32_e64 v101, s0, s7, v89, s0
	global_load_dwordx4 v[84:87], v[84:85], off
	global_load_dwordx4 v[88:91], v[88:89], off
	s_clause 0x1
	global_load_dwordx4 v[92:95], v[96:97], off offset:192
	global_load_dwordx4 v[96:99], v[96:97], off offset:768
	global_load_dwordx4 v[100:103], v[100:101], off
	s_waitcnt vmcnt(14)
	v_mul_f64 v[104:105], v[46:47], v[2:3]
	v_mul_f64 v[2:3], v[44:45], v[2:3]
	s_waitcnt vmcnt(13)
	v_mul_f64 v[106:107], v[50:51], v[6:7]
	v_mul_f64 v[6:7], v[48:49], v[6:7]
	;; [unrolled: 3-line block ×5, first 2 shown]
	v_fma_f64 v[44:45], v[44:45], v[0:1], v[104:105]
	s_waitcnt vmcnt(9)
	v_mul_f64 v[104:105], v[66:67], v[22:23]
	v_mul_f64 v[22:23], v[64:65], v[22:23]
	v_fma_f64 v[46:47], v[46:47], v[0:1], -v[2:3]
	v_fma_f64 v[0:1], v[48:49], v[4:5], v[106:107]
	s_waitcnt vmcnt(8)
	v_mul_f64 v[48:49], v[70:71], v[26:27]
	v_mul_f64 v[26:27], v[68:69], v[26:27]
	v_fma_f64 v[2:3], v[50:51], v[4:5], -v[6:7]
	s_waitcnt vmcnt(7)
	v_mul_f64 v[50:51], v[74:75], v[30:31]
	v_mul_f64 v[30:31], v[72:73], v[30:31]
	s_waitcnt vmcnt(6)
	v_mul_f64 v[106:107], v[78:79], v[34:35]
	v_mul_f64 v[34:35], v[76:77], v[34:35]
	v_fma_f64 v[4:5], v[52:53], v[8:9], v[108:109]
	v_fma_f64 v[6:7], v[54:55], v[8:9], -v[10:11]
	s_waitcnt vmcnt(5)
	v_mul_f64 v[114:115], v[82:83], v[38:39]
	v_mul_f64 v[38:39], v[80:81], v[38:39]
	v_fma_f64 v[8:9], v[56:57], v[12:13], v[110:111]
	v_fma_f64 v[10:11], v[58:59], v[12:13], -v[14:15]
	v_fma_f64 v[12:13], v[60:61], v[16:17], v[112:113]
	v_fma_f64 v[14:15], v[62:63], v[16:17], -v[18:19]
	s_waitcnt vmcnt(4)
	v_mul_f64 v[116:117], v[86:87], v[42:43]
	v_mul_f64 v[42:43], v[84:85], v[42:43]
	s_waitcnt vmcnt(2)
	v_mul_f64 v[118:119], v[90:91], v[94:95]
	v_mul_f64 v[94:95], v[88:89], v[94:95]
	;; [unrolled: 3-line block ×3, first 2 shown]
	v_fma_f64 v[16:17], v[64:65], v[20:21], v[104:105]
	v_fma_f64 v[18:19], v[66:67], v[20:21], -v[22:23]
	v_fma_f64 v[20:21], v[68:69], v[24:25], v[48:49]
	v_fma_f64 v[22:23], v[70:71], v[24:25], -v[26:27]
	;; [unrolled: 2-line block ×8, first 2 shown]
	ds_write_b128 v253, v[44:47]
	ds_write_b128 v253, v[0:3] offset:576
	ds_write_b128 v253, v[4:7] offset:1152
	;; [unrolled: 1-line block ×12, first 2 shown]
.LBB0_3:
	s_or_b32 exec_lo, exec_lo, s1
	s_clause 0x1
	s_load_dwordx2 s[0:1], s[4:5], 0x20
	s_load_dwordx2 s[2:3], s[4:5], 0x8
	s_waitcnt lgkmcnt(0)
	s_barrier
	buffer_gl0_inv
                                        ; implicit-def: $vgpr16_vgpr17
                                        ; implicit-def: $vgpr32_vgpr33
                                        ; implicit-def: $vgpr40_vgpr41
                                        ; implicit-def: $vgpr28_vgpr29
                                        ; implicit-def: $vgpr24_vgpr25
                                        ; implicit-def: $vgpr8_vgpr9
                                        ; implicit-def: $vgpr4_vgpr5
                                        ; implicit-def: $vgpr12_vgpr13
                                        ; implicit-def: $vgpr20_vgpr21
                                        ; implicit-def: $vgpr44_vgpr45
                                        ; implicit-def: $vgpr52_vgpr53
                                        ; implicit-def: $vgpr48_vgpr49
                                        ; implicit-def: $vgpr36_vgpr37
	s_and_saveexec_b32 s4, vcc_lo
	s_cbranch_execz .LBB0_5
; %bb.4:
	ds_read_b128 v[16:19], v253
	ds_read_b128 v[36:39], v253 offset:576
	ds_read_b128 v[48:51], v253 offset:1152
	;; [unrolled: 1-line block ×12, first 2 shown]
.LBB0_5:
	s_or_b32 exec_lo, exec_lo, s4
	s_waitcnt lgkmcnt(0)
	v_add_f64 v[64:65], v[38:39], -v[6:7]
	v_add_f64 v[62:63], v[36:37], -v[4:5]
	s_mov_b32 s4, 0x4267c47c
	s_mov_b32 s5, 0xbfddbe06
	v_add_f64 v[60:61], v[4:5], v[36:37]
	v_add_f64 v[84:85], v[6:7], v[38:39]
	v_add_f64 v[88:89], v[50:51], -v[10:11]
	v_add_f64 v[58:59], v[48:49], -v[8:9]
	s_mov_b32 s6, 0xe00740e9
	s_mov_b32 s10, 0x42a4c3d2
	;; [unrolled: 1-line block ×8, first 2 shown]
	v_add_f64 v[56:57], v[8:9], v[48:49]
	v_add_f64 v[90:91], v[10:11], v[50:51]
	v_add_f64 v[92:93], v[34:35], -v[14:15]
	v_add_f64 v[68:69], v[32:33], -v[12:13]
	s_mov_b32 s20, 0x1ea71119
	s_mov_b32 s22, 0xebaa3ed8
	v_mul_f64 v[96:97], v[64:65], s[4:5]
	v_mul_f64 v[100:101], v[62:63], s[4:5]
	;; [unrolled: 1-line block ×10, first 2 shown]
	s_mov_b32 s8, 0xb2365da1
	s_mov_b32 s30, 0x24c2f84
	;; [unrolled: 1-line block ×8, first 2 shown]
	v_add_f64 v[70:71], v[32:33], v[12:13]
	v_add_f64 v[98:99], v[34:35], v[14:15]
	v_add_f64 v[112:113], v[42:43], -v[22:23]
	v_add_f64 v[86:87], v[40:41], -v[20:21]
	v_fma_f64 v[0:1], v[60:61], s[6:7], v[96:97]
	v_fma_f64 v[2:3], v[84:85], s[6:7], -v[100:101]
	v_mul_f64 v[116:117], v[92:93], s[18:19]
	v_mul_f64 v[118:119], v[68:69], s[18:19]
	v_mul_f64 v[132:133], v[88:89], s[16:17]
	v_mul_f64 v[137:138], v[58:59], s[16:17]
	v_fma_f64 v[72:73], v[56:57], s[20:21], v[94:95]
	v_fma_f64 v[74:75], v[90:91], s[20:21], -v[102:103]
	v_fma_f64 v[76:77], v[60:61], s[20:21], v[128:129]
	v_fma_f64 v[78:79], v[84:85], s[20:21], -v[143:144]
	v_mul_f64 v[139:140], v[88:89], s[38:39]
	v_mul_f64 v[153:154], v[58:59], s[38:39]
	v_fma_f64 v[80:81], v[60:61], s[22:23], v[199:200]
	v_fma_f64 v[82:83], v[84:85], s[22:23], -v[205:206]
	v_mul_f64 v[159:160], v[88:89], s[30:31]
	v_mul_f64 v[195:196], v[58:59], s[30:31]
	v_fma_f64 v[126:127], v[60:61], s[8:9], v[207:208]
	v_fma_f64 v[141:142], v[84:85], s[8:9], -v[211:212]
	s_mov_b32 s24, 0xd0032e0c
	s_mov_b32 s26, 0x93053d00
	;; [unrolled: 1-line block ×4, first 2 shown]
	v_add_f64 v[0:1], v[16:17], v[0:1]
	v_add_f64 v[2:3], v[18:19], v[2:3]
	s_mov_b32 s35, 0x3fddbe06
	s_mov_b32 s37, 0x3fedeba7
	;; [unrolled: 1-line block ×4, first 2 shown]
	v_add_f64 v[66:67], v[40:41], v[20:21]
	v_add_f64 v[104:105], v[42:43], v[22:23]
	v_mul_f64 v[122:123], v[112:113], s[16:17]
	v_mul_f64 v[124:125], v[86:87], s[16:17]
	;; [unrolled: 1-line block ×4, first 2 shown]
	v_fma_f64 v[145:146], v[70:71], s[22:23], v[116:117]
	v_fma_f64 v[147:148], v[98:99], s[22:23], -v[118:119]
	v_fma_f64 v[149:150], v[56:57], s[8:9], v[132:133]
	v_fma_f64 v[155:156], v[90:91], s[8:9], -v[137:138]
	v_add_f64 v[76:77], v[16:17], v[76:77]
	v_mul_f64 v[151:152], v[92:93], s[36:37]
	v_mul_f64 v[161:162], v[68:69], s[36:37]
	v_add_f64 v[80:81], v[16:17], v[80:81]
	v_add_f64 v[82:83], v[18:19], v[82:83]
	v_mul_f64 v[175:176], v[92:93], s[34:35]
	v_add_f64 v[0:1], v[72:73], v[0:1]
	v_add_f64 v[2:3], v[74:75], v[2:3]
	;; [unrolled: 1-line block ×3, first 2 shown]
	v_fma_f64 v[74:75], v[56:57], s[26:27], v[139:140]
	v_fma_f64 v[78:79], v[90:91], s[26:27], -v[153:154]
	v_mul_f64 v[201:202], v[68:69], s[34:35]
	v_fma_f64 v[157:158], v[56:57], s[24:25], v[159:160]
	v_fma_f64 v[163:164], v[90:91], s[24:25], -v[195:196]
	v_add_f64 v[165:166], v[16:17], v[126:127]
	v_add_f64 v[141:142], v[18:19], v[141:142]
	v_add_f64 v[106:107], v[54:55], -v[26:27]
	v_add_f64 v[110:111], v[52:53], -v[24:25]
	v_fma_f64 v[167:168], v[66:67], s[8:9], v[122:123]
	v_fma_f64 v[173:174], v[104:105], s[8:9], -v[124:125]
	v_fma_f64 v[177:178], v[70:71], s[26:27], v[130:131]
	v_fma_f64 v[179:180], v[98:99], s[26:27], -v[134:135]
	v_add_f64 v[76:77], v[149:150], v[76:77]
	v_mul_f64 v[149:150], v[112:113], s[30:31]
	v_fma_f64 v[181:182], v[98:99], s[8:9], -v[161:162]
	v_mul_f64 v[169:170], v[112:113], s[34:35]
	v_mul_f64 v[171:172], v[86:87], s[34:35]
	;; [unrolled: 1-line block ×3, first 2 shown]
	v_add_f64 v[0:1], v[145:146], v[0:1]
	v_add_f64 v[2:3], v[147:148], v[2:3]
	;; [unrolled: 1-line block ×3, first 2 shown]
	v_mul_f64 v[155:156], v[86:87], s[30:31]
	v_fma_f64 v[147:148], v[70:71], s[8:9], v[151:152]
	v_add_f64 v[74:75], v[74:75], v[80:81]
	v_add_f64 v[78:79], v[78:79], v[82:83]
	v_fma_f64 v[80:81], v[70:71], s[6:7], v[175:176]
	v_fma_f64 v[82:83], v[98:99], s[6:7], -v[201:202]
	v_add_f64 v[157:158], v[157:158], v[165:166]
	v_add_f64 v[165:166], v[163:164], v[141:142]
	v_mul_f64 v[189:190], v[86:87], s[18:19]
	s_mov_b32 s29, 0xbfe5384d
	s_mov_b32 s28, s30
	;; [unrolled: 1-line block ×6, first 2 shown]
	v_add_f64 v[108:109], v[24:25], v[52:53]
	v_add_f64 v[114:115], v[26:27], v[54:55]
	v_add_f64 v[120:121], v[46:47], -v[30:31]
	v_add_f64 v[126:127], v[44:45], -v[28:29]
	v_mul_f64 v[141:142], v[106:107], s[28:29]
	v_mul_f64 v[145:146], v[110:111], s[28:29]
	v_add_f64 v[76:77], v[177:178], v[76:77]
	v_add_f64 v[0:1], v[167:168], v[0:1]
	;; [unrolled: 1-line block ×4, first 2 shown]
	v_fma_f64 v[173:174], v[66:67], s[24:25], v[149:150]
	v_fma_f64 v[179:180], v[104:105], s[24:25], -v[155:156]
	v_mul_f64 v[163:164], v[106:107], s[42:43]
	v_mul_f64 v[167:168], v[110:111], s[42:43]
	v_add_f64 v[74:75], v[147:148], v[74:75]
	v_add_f64 v[78:79], v[181:182], v[78:79]
	v_fma_f64 v[185:186], v[66:67], s[6:7], v[169:170]
	v_fma_f64 v[187:188], v[104:105], s[6:7], -v[171:172]
	v_mul_f64 v[177:178], v[106:107], s[10:11]
	v_mul_f64 v[181:182], v[110:111], s[10:11]
	v_add_f64 v[80:81], v[80:81], v[157:158]
	v_add_f64 v[82:83], v[82:83], v[165:166]
	v_fma_f64 v[197:198], v[66:67], s[22:23], v[183:184]
	v_fma_f64 v[203:204], v[104:105], s[22:23], -v[189:190]
	v_mul_f64 v[191:192], v[106:107], s[40:41]
	v_mul_f64 v[193:194], v[110:111], s[40:41]
	s_mov_b32 s45, 0x3fea55e2
	s_mov_b32 s44, s10
	v_fma_f64 v[213:214], v[108:109], s[24:25], v[141:142]
	v_fma_f64 v[215:216], v[114:115], s[24:25], -v[145:146]
	v_add_f64 v[147:148], v[28:29], v[44:45]
	v_mul_f64 v[157:158], v[120:121], s[38:39]
	v_add_f64 v[209:210], v[30:31], v[46:47]
	v_mul_f64 v[165:166], v[126:127], s[38:39]
	v_add_f64 v[76:77], v[173:174], v[76:77]
	v_add_f64 v[72:73], v[179:180], v[72:73]
	v_fma_f64 v[217:218], v[108:109], s[22:23], v[163:164]
	v_fma_f64 v[219:220], v[114:115], s[22:23], -v[167:168]
	v_mul_f64 v[173:174], v[120:121], s[34:35]
	v_mul_f64 v[179:180], v[126:127], s[34:35]
	v_add_f64 v[74:75], v[185:186], v[74:75]
	v_add_f64 v[78:79], v[187:188], v[78:79]
	v_fma_f64 v[221:222], v[108:109], s[20:21], v[177:178]
	v_fma_f64 v[223:224], v[114:115], s[20:21], -v[181:182]
	v_mul_f64 v[185:186], v[120:121], s[28:29]
	;; [unrolled: 6-line block ×3, first 2 shown]
	v_mul_f64 v[203:204], v[126:127], s[44:45]
	v_add_f64 v[0:1], v[213:214], v[0:1]
	v_add_f64 v[2:3], v[215:216], v[2:3]
	v_fma_f64 v[213:214], v[147:148], s[26:27], v[157:158]
	v_fma_f64 v[215:216], v[209:210], s[26:27], -v[165:166]
	s_barrier
	v_add_f64 v[76:77], v[217:218], v[76:77]
	v_add_f64 v[72:73], v[219:220], v[72:73]
	v_fma_f64 v[217:218], v[147:148], s[6:7], v[173:174]
	v_fma_f64 v[219:220], v[209:210], s[6:7], -v[179:180]
	buffer_gl0_inv
	v_add_f64 v[74:75], v[221:222], v[74:75]
	v_add_f64 v[78:79], v[223:224], v[78:79]
	v_fma_f64 v[221:222], v[147:148], s[24:25], v[185:186]
	v_fma_f64 v[223:224], v[209:210], s[24:25], -v[187:188]
	v_add_f64 v[225:226], v[225:226], v[80:81]
	v_add_f64 v[227:228], v[227:228], v[82:83]
	v_fma_f64 v[229:230], v[147:148], s[20:21], v[197:198]
	v_fma_f64 v[231:232], v[209:210], s[20:21], -v[203:204]
	v_add_f64 v[0:1], v[213:214], v[0:1]
	v_add_f64 v[2:3], v[215:216], v[2:3]
	;; [unrolled: 1-line block ×8, first 2 shown]
	s_and_saveexec_b32 s33, vcc_lo
	s_cbranch_execz .LBB0_7
; %bb.6:
	v_add_f64 v[38:39], v[18:19], v[38:39]
	v_add_f64 v[36:37], v[16:17], v[36:37]
	v_mul_f64 v[221:222], v[90:91], s[6:7]
	v_mul_f64 v[215:216], v[84:85], s[22:23]
	;; [unrolled: 1-line block ×17, first 2 shown]
	v_add_f64 v[38:39], v[50:51], v[38:39]
	v_add_f64 v[36:37], v[48:49], v[36:37]
	v_mul_f64 v[50:51], v[84:85], s[20:21]
	v_fma_f64 v[247:248], v[58:59], s[4:5], v[221:222]
	v_fma_f64 v[221:222], v[58:59], s[34:35], v[221:222]
	v_mul_f64 v[48:49], v[60:61], s[20:21]
	v_add_f64 v[211:212], v[211:212], v[219:220]
	v_add_f64 v[205:206], v[205:206], v[215:216]
	v_mul_f64 v[215:216], v[104:105], s[20:21]
	v_add_f64 v[207:208], v[217:218], -v[207:208]
	v_add_f64 v[199:200], v[213:214], -v[199:200]
	v_mul_f64 v[219:220], v[98:99], s[26:27]
	v_fma_f64 v[213:214], v[58:59], s[18:19], v[90:91]
	v_fma_f64 v[58:59], v[58:59], s[42:43], v[90:91]
	v_add_f64 v[195:196], v[195:196], v[239:240]
	v_add_f64 v[153:154], v[153:154], v[235:236]
	;; [unrolled: 1-line block ×4, first 2 shown]
	v_add_f64 v[94:95], v[225:226], -v[94:95]
	v_add_f64 v[132:133], v[229:230], -v[132:133]
	v_mul_f64 v[217:218], v[70:71], s[8:9]
	v_add_f64 v[139:140], v[233:234], -v[139:140]
	v_add_f64 v[34:35], v[34:35], v[38:39]
	v_add_f64 v[32:33], v[32:33], v[36:37]
	v_mul_f64 v[36:37], v[84:85], s[26:27]
	v_mul_f64 v[38:39], v[64:65], s[38:39]
	;; [unrolled: 1-line block ×3, first 2 shown]
	v_add_f64 v[50:51], v[143:144], v[50:51]
	v_mul_f64 v[143:144], v[98:99], s[20:21]
	v_add_f64 v[48:49], v[48:49], -v[128:129]
	v_mul_f64 v[128:129], v[98:99], s[8:9]
	v_mul_f64 v[98:99], v[98:99], s[6:7]
	v_add_f64 v[211:212], v[18:19], v[211:212]
	v_add_f64 v[205:206], v[18:19], v[205:206]
	v_add_f64 v[207:208], v[16:17], v[207:208]
	v_add_f64 v[199:200], v[16:17], v[199:200]
	v_add_f64 v[159:160], v[237:238], -v[159:160]
	v_add_f64 v[118:119], v[118:119], v[243:244]
	v_add_f64 v[134:135], v[134:135], v[219:220]
	v_mul_f64 v[90:91], v[66:67], s[6:7]
	v_mul_f64 v[239:240], v[114:115], s[24:25]
	;; [unrolled: 1-line block ×3, first 2 shown]
	v_add_f64 v[151:152], v[217:218], -v[151:152]
	v_mul_f64 v[227:228], v[209:210], s[24:25]
	v_add_f64 v[34:35], v[42:43], v[34:35]
	v_add_f64 v[32:33], v[40:41], v[32:33]
	v_fma_f64 v[223:224], v[62:63], s[40:41], v[36:37]
	v_fma_f64 v[36:37], v[62:63], s[38:39], v[36:37]
	v_mul_f64 v[42:43], v[84:85], s[6:7]
	v_mul_f64 v[84:85], v[84:85], s[24:25]
	;; [unrolled: 1-line block ×3, first 2 shown]
	v_add_f64 v[50:51], v[18:19], v[50:51]
	v_add_f64 v[48:49], v[16:17], v[48:49]
	;; [unrolled: 1-line block ×6, first 2 shown]
	v_mul_f64 v[201:202], v[209:210], s[8:9]
	v_mul_f64 v[211:212], v[209:210], s[26:27]
	;; [unrolled: 1-line block ×4, first 2 shown]
	v_add_f64 v[90:91], v[90:91], -v[169:170]
	v_mul_f64 v[229:230], v[147:148], s[20:21]
	v_add_f64 v[34:35], v[54:55], v[34:35]
	v_add_f64 v[32:33], v[52:53], v[32:33]
	v_mul_f64 v[52:53], v[88:89], s[34:35]
	v_fma_f64 v[54:55], v[60:61], s[26:27], v[38:39]
	v_fma_f64 v[38:39], v[60:61], s[26:27], -v[38:39]
	v_add_f64 v[223:224], v[18:19], v[223:224]
	v_add_f64 v[36:37], v[18:19], v[36:37]
	v_fma_f64 v[249:250], v[62:63], s[30:31], v[84:85]
	v_mul_f64 v[88:89], v[88:89], s[42:43]
	v_fma_f64 v[62:63], v[62:63], s[28:29], v[84:85]
	v_fma_f64 v[84:85], v[60:61], s[24:25], v[64:65]
	v_add_f64 v[42:43], v[100:101], v[42:43]
	v_fma_f64 v[60:61], v[60:61], s[24:25], -v[64:65]
	v_add_f64 v[40:41], v[40:41], -v[96:97]
	v_mul_f64 v[96:97], v[114:115], s[8:9]
	v_mul_f64 v[64:65], v[70:71], s[26:27]
	;; [unrolled: 1-line block ×3, first 2 shown]
	v_add_f64 v[50:51], v[137:138], v[50:51]
	v_add_f64 v[34:35], v[46:47], v[34:35]
	;; [unrolled: 1-line block ×3, first 2 shown]
	v_fma_f64 v[44:45], v[56:57], s[6:7], v[52:53]
	v_add_f64 v[46:47], v[16:17], v[54:55]
	v_mul_f64 v[54:55], v[92:93], s[28:29]
	v_fma_f64 v[52:53], v[56:57], s[6:7], -v[52:53]
	v_add_f64 v[38:39], v[16:17], v[38:39]
	v_add_f64 v[223:224], v[247:248], v[223:224]
	v_fma_f64 v[247:248], v[68:69], s[30:31], v[245:246]
	v_fma_f64 v[245:246], v[68:69], s[28:29], v[245:246]
	v_add_f64 v[36:37], v[221:222], v[36:37]
	v_add_f64 v[249:250], v[18:19], v[249:250]
	v_mul_f64 v[221:222], v[112:113], s[44:45]
	v_add_f64 v[84:85], v[16:17], v[84:85]
	v_mul_f64 v[92:93], v[92:93], s[10:11]
	v_add_f64 v[62:63], v[18:19], v[62:63]
	v_add_f64 v[18:19], v[18:19], v[42:43]
	;; [unrolled: 1-line block ×4, first 2 shown]
	v_mul_f64 v[112:113], v[112:113], s[40:41]
	v_fma_f64 v[40:41], v[110:111], s[36:37], v[96:97]
	v_fma_f64 v[96:97], v[110:111], s[16:17], v[96:97]
	v_add_f64 v[30:31], v[30:31], v[34:35]
	v_add_f64 v[28:29], v[28:29], v[32:33]
	v_mul_f64 v[32:33], v[104:105], s[6:7]
	v_add_f64 v[44:45], v[44:45], v[46:47]
	v_fma_f64 v[46:47], v[70:71], s[24:25], v[54:55]
	v_fma_f64 v[54:55], v[70:71], s[24:25], -v[54:55]
	v_add_f64 v[38:39], v[52:53], v[38:39]
	v_fma_f64 v[52:53], v[56:57], s[22:23], v[88:89]
	v_add_f64 v[223:224], v[247:248], v[223:224]
	v_fma_f64 v[247:248], v[86:87], s[10:11], v[215:216]
	;; [unrolled: 2-line block ×3, first 2 shown]
	v_add_f64 v[213:214], v[213:214], v[249:250]
	v_mul_f64 v[249:250], v[106:107], s[16:17]
	v_fma_f64 v[245:246], v[66:67], s[20:21], v[221:222]
	v_fma_f64 v[221:222], v[66:67], s[20:21], -v[221:222]
	v_fma_f64 v[56:57], v[56:57], s[22:23], -v[88:89]
	v_add_f64 v[58:59], v[58:59], v[62:63]
	v_add_f64 v[18:19], v[102:103], v[18:19]
	v_add_f64 v[102:103], v[241:242], -v[116:117]
	v_add_f64 v[16:17], v[94:95], v[16:17]
	v_add_f64 v[64:65], v[64:65], -v[130:131]
	v_add_f64 v[26:27], v[26:27], v[30:31]
	v_add_f64 v[24:25], v[24:25], v[28:29]
	;; [unrolled: 1-line block ×5, first 2 shown]
	v_mul_f64 v[46:47], v[104:105], s[26:27]
	v_add_f64 v[38:39], v[54:55], v[38:39]
	v_fma_f64 v[54:55], v[68:69], s[44:45], v[143:144]
	v_add_f64 v[52:53], v[52:53], v[84:85]
	v_fma_f64 v[84:85], v[70:71], s[20:21], v[92:93]
	v_add_f64 v[42:43], v[247:248], v[223:224]
	v_mul_f64 v[247:248], v[104:105], s[8:9]
	v_add_f64 v[36:37], v[215:216], v[36:37]
	v_fma_f64 v[68:69], v[68:69], s[10:11], v[143:144]
	v_mul_f64 v[223:224], v[66:67], s[8:9]
	v_fma_f64 v[215:216], v[108:109], s[8:9], -v[249:250]
	v_mul_f64 v[34:35], v[66:67], s[22:23]
	v_add_f64 v[100:101], v[100:101], -v[175:176]
	v_add_f64 v[48:49], v[159:160], v[207:208]
	v_fma_f64 v[70:71], v[70:71], s[20:21], -v[92:93]
	v_add_f64 v[56:57], v[56:57], v[60:61]
	v_add_f64 v[32:33], v[171:172], v[32:33]
	;; [unrolled: 1-line block ×5, first 2 shown]
	v_mul_f64 v[143:144], v[114:115], s[26:27]
	v_add_f64 v[44:45], v[245:246], v[44:45]
	v_fma_f64 v[245:246], v[108:109], s[8:9], v[249:250]
	v_add_f64 v[38:39], v[221:222], v[38:39]
	v_fma_f64 v[221:222], v[86:87], s[38:39], v[46:47]
	v_add_f64 v[54:55], v[54:55], v[213:214]
	v_mul_f64 v[249:250], v[104:105], s[24:25]
	v_mul_f64 v[104:105], v[104:105], s[22:23]
	v_add_f64 v[52:53], v[84:85], v[52:53]
	v_mul_f64 v[84:85], v[66:67], s[24:25]
	v_fma_f64 v[213:214], v[66:67], s[26:27], v[112:113]
	v_add_f64 v[36:37], v[96:97], v[36:37]
	v_mul_f64 v[96:97], v[114:115], s[22:23]
	v_fma_f64 v[46:47], v[86:87], s[40:41], v[46:47]
	v_add_f64 v[58:59], v[68:69], v[58:59]
	v_add_f64 v[68:69], v[98:99], v[195:196]
	v_add_f64 v[86:87], v[128:129], v[153:154]
	v_add_f64 v[98:99], v[124:125], v[247:248]
	v_add_f64 v[40:41], v[40:41], v[42:43]
	v_mul_f64 v[42:43], v[108:109], s[24:25]
	v_fma_f64 v[60:61], v[66:67], s[26:27], -v[112:113]
	v_add_f64 v[50:51], v[134:135], v[50:51]
	v_add_f64 v[16:17], v[102:103], v[16:17]
	;; [unrolled: 1-line block ×4, first 2 shown]
	v_mul_f64 v[245:246], v[108:109], s[22:23]
	v_add_f64 v[38:39], v[215:216], v[38:39]
	v_add_f64 v[54:55], v[221:222], v[54:55]
	v_mul_f64 v[221:222], v[114:115], s[20:21]
	v_mul_f64 v[114:115], v[114:115], s[6:7]
	v_add_f64 v[66:67], v[189:190], v[104:105]
	v_add_f64 v[94:95], v[155:156], v[249:250]
	v_add_f64 v[104:105], v[223:224], -v[122:123]
	v_add_f64 v[84:85], v[84:85], -v[149:150]
	v_mul_f64 v[215:216], v[108:109], s[20:21]
	v_add_f64 v[26:27], v[151:152], v[30:31]
	v_add_f64 v[52:53], v[213:214], v[52:53]
	v_mul_f64 v[213:214], v[108:109], s[26:27]
	v_add_f64 v[34:35], v[34:35], -v[183:184]
	v_add_f64 v[28:29], v[100:101], v[48:49]
	v_mul_f64 v[106:107], v[106:107], s[34:35]
	v_add_f64 v[30:31], v[70:71], v[56:57]
	v_add_f64 v[32:33], v[32:33], v[86:87]
	;; [unrolled: 1-line block ×7, first 2 shown]
	v_mul_f64 v[62:63], v[209:210], s[22:23]
	v_mul_f64 v[88:89], v[147:148], s[26:27]
	;; [unrolled: 1-line block ×3, first 2 shown]
	v_fma_f64 v[48:49], v[110:111], s[34:35], v[114:115]
	v_add_f64 v[46:47], v[46:47], v[58:59]
	v_add_f64 v[58:59], v[193:194], v[143:144]
	;; [unrolled: 1-line block ×5, first 2 shown]
	v_add_f64 v[42:43], v[42:43], -v[141:142]
	v_add_f64 v[16:17], v[104:105], v[16:17]
	v_add_f64 v[94:95], v[245:246], -v[163:164]
	v_add_f64 v[20:21], v[84:85], v[24:25]
	;; [unrolled: 2-line block ×4, first 2 shown]
	v_mul_f64 v[92:93], v[120:121], s[42:43]
	v_mul_f64 v[120:121], v[120:121], s[16:17]
	v_fma_f64 v[56:57], v[108:109], s[6:7], -v[106:107]
	v_add_f64 v[26:27], v[60:61], v[30:31]
	v_fma_f64 v[161:162], v[110:111], s[4:5], v[114:115]
	v_fma_f64 v[205:206], v[108:109], s[6:7], v[106:107]
	v_add_f64 v[90:91], v[96:97], v[18:19]
	v_add_f64 v[96:97], v[10:11], v[14:15]
	;; [unrolled: 1-line block ×10, first 2 shown]
	v_add_f64 v[88:89], v[88:89], -v[157:158]
	v_add_f64 v[16:17], v[42:43], v[16:17]
	v_fma_f64 v[28:29], v[126:127], s[16:17], v[201:202]
	v_add_f64 v[68:69], v[179:180], v[237:238]
	v_add_f64 v[84:85], v[235:236], -v[173:174]
	v_add_f64 v[20:21], v[94:95], v[20:21]
	v_add_f64 v[64:65], v[231:232], -v[185:186]
	;; [unrolled: 2-line block ×3, first 2 shown]
	v_add_f64 v[66:67], v[66:67], v[24:25]
	v_fma_f64 v[46:47], v[147:148], s[8:9], -v[120:121]
	v_add_f64 v[56:57], v[56:57], v[26:27]
	v_fma_f64 v[225:226], v[126:127], s[18:19], v[62:63]
	v_fma_f64 v[233:234], v[147:148], s[22:23], v[92:93]
	;; [unrolled: 1-line block ×3, first 2 shown]
	v_fma_f64 v[92:93], v[147:148], s[22:23], -v[92:93]
	v_fma_f64 v[175:176], v[126:127], s[36:37], v[201:202]
	v_add_f64 v[54:55], v[161:162], v[54:55]
	v_fma_f64 v[70:71], v[147:148], s[8:9], v[120:121]
	v_add_f64 v[52:53], v[205:206], v[52:53]
	v_add_f64 v[6:7], v[6:7], v[96:97]
	;; [unrolled: 1-line block ×17, first 2 shown]
	v_mov_b32_e32 v40, 4
	v_add_f64 v[38:39], v[175:176], v[54:55]
	v_mul_lo_u16 v41, v254, 13
	v_add_f64 v[36:37], v[70:71], v[52:53]
	v_lshlrev_b32_sdwa v40, v40, v41 dst_sel:DWORD dst_unused:UNUSED_PAD src0_sel:DWORD src1_sel:WORD_0
	ds_write_b128 v40, v[4:7]
	ds_write_b128 v40, v[32:35] offset:16
	ds_write_b128 v40, v[28:31] offset:32
	;; [unrolled: 1-line block ×12, first 2 shown]
.LBB0_7:
	s_or_b32 exec_lo, exec_lo, s33
	v_and_b32_e32 v4, 0xff, v254
	s_load_dwordx4 s[4:7], s[0:1], 0x0
	s_waitcnt lgkmcnt(0)
	s_barrier
	buffer_gl0_inv
	v_mul_lo_u16 v4, 0x4f, v4
	s_mov_b32 s8, 0x8c811c17
	s_mov_b32 s10, 0xa2cf5039
	s_mov_b32 s1, 0x3fe491b7
	s_mov_b32 s0, 0x523c161c
	v_lshrrev_b16 v132, 10, v4
	s_mov_b32 s9, 0x3fef838b
	s_mov_b32 s11, 0x3fe8836f
	;; [unrolled: 1-line block ×4, first 2 shown]
	v_mul_lo_u16 v4, v132, 13
	v_sub_nc_u16 v4, v254, v4
	v_and_b32_e32 v133, 0xff, v4
	v_lshlrev_b32_e32 v4, 7, v133
	s_clause 0x7
	global_load_dwordx4 v[12:15], v4, s[2:3]
	global_load_dwordx4 v[20:23], v4, s[2:3] offset:112
	global_load_dwordx4 v[16:19], v4, s[2:3] offset:48
	;; [unrolled: 1-line block ×7, first 2 shown]
	ds_read_b128 v[36:39], v253 offset:832
	ds_read_b128 v[40:43], v253 offset:6656
	ds_read_b128 v[44:47], v253 offset:3328
	ds_read_b128 v[48:51], v253 offset:4160
	ds_read_b128 v[52:55], v253 offset:1664
	ds_read_b128 v[56:59], v253 offset:5824
	ds_read_b128 v[60:63], v253 offset:2496
	ds_read_b128 v[64:67], v253 offset:4992
	s_waitcnt vmcnt(7) lgkmcnt(7)
	v_mul_f64 v[68:69], v[38:39], v[14:15]
	v_mul_f64 v[70:71], v[36:37], v[14:15]
	s_waitcnt vmcnt(6) lgkmcnt(6)
	v_mul_f64 v[84:85], v[42:43], v[22:23]
	v_mul_f64 v[86:87], v[40:41], v[22:23]
	;; [unrolled: 3-line block ×6, first 2 shown]
	v_fma_f64 v[68:69], v[36:37], v[12:13], -v[68:69]
	v_fma_f64 v[70:71], v[38:39], v[12:13], v[70:71]
	ds_read_b128 v[36:39], v253
	v_fma_f64 v[40:41], v[40:41], v[20:21], -v[84:85]
	v_fma_f64 v[42:43], v[42:43], v[20:21], v[86:87]
	v_fma_f64 v[44:45], v[44:45], v[16:17], -v[88:89]
	v_fma_f64 v[46:47], v[46:47], v[16:17], v[90:91]
	;; [unrolled: 2-line block ×5, first 2 shown]
	s_waitcnt vmcnt(1) lgkmcnt(2)
	v_mul_f64 v[84:85], v[62:63], v[10:11]
	v_mul_f64 v[86:87], v[60:61], v[10:11]
	s_waitcnt vmcnt(0) lgkmcnt(1)
	v_mul_f64 v[88:89], v[66:67], v[6:7]
	v_mul_f64 v[90:91], v[64:65], v[6:7]
	s_waitcnt lgkmcnt(0)
	s_barrier
	buffer_gl0_inv
	v_add_f64 v[92:93], v[68:69], -v[40:41]
	v_add_f64 v[94:95], v[70:71], -v[42:43]
	v_add_f64 v[40:41], v[68:69], v[40:41]
	v_add_f64 v[42:43], v[70:71], v[42:43]
	;; [unrolled: 1-line block ×4, first 2 shown]
	v_add_f64 v[96:97], v[44:45], -v[48:49]
	v_add_f64 v[98:99], v[46:47], -v[50:51]
	v_add_f64 v[100:101], v[52:53], v[56:57]
	v_add_f64 v[102:103], v[54:55], v[58:59]
	v_fma_f64 v[60:61], v[60:61], v[8:9], -v[84:85]
	v_fma_f64 v[62:63], v[62:63], v[8:9], v[86:87]
	v_fma_f64 v[64:65], v[64:65], v[4:5], -v[88:89]
	v_fma_f64 v[66:67], v[66:67], v[4:5], v[90:91]
	v_add_f64 v[52:53], v[52:53], -v[56:57]
	v_add_f64 v[54:55], v[54:55], -v[58:59]
	v_mul_f64 v[56:57], v[92:93], s[0:1]
	v_mul_f64 v[58:59], v[94:95], s[0:1]
	v_fma_f64 v[84:85], v[40:41], s[10:11], v[36:37]
	v_fma_f64 v[86:87], v[42:43], s[10:11], v[38:39]
	s_mov_b32 s1, 0xbfe491b7
	v_fma_f64 v[88:89], v[68:69], s[10:11], v[36:37]
	v_fma_f64 v[90:91], v[70:71], s[10:11], v[38:39]
	v_mul_f64 v[104:105], v[96:97], s[8:9]
	v_mul_f64 v[106:107], v[98:99], s[8:9]
	v_fma_f64 v[108:109], v[100:101], s[10:11], v[36:37]
	v_fma_f64 v[110:111], v[102:103], s[10:11], v[38:39]
	v_mul_f64 v[112:113], v[98:99], s[0:1]
	v_mul_f64 v[114:115], v[96:97], s[0:1]
	v_add_f64 v[116:117], v[60:61], v[64:65]
	v_add_f64 v[118:119], v[62:63], v[66:67]
	;; [unrolled: 1-line block ×4, first 2 shown]
	v_add_f64 v[60:61], v[60:61], -v[64:65]
	v_add_f64 v[62:63], v[62:63], -v[66:67]
	s_mov_b32 s10, 0xe8584cab
	s_mov_b32 s11, 0x3febb67a
	v_fma_f64 v[56:57], v[52:53], s[8:9], v[56:57]
	v_fma_f64 v[58:59], v[54:55], s[8:9], v[58:59]
	v_fma_f64 v[64:65], v[100:101], s[16:17], v[84:85]
	v_fma_f64 v[66:67], v[102:103], s[16:17], v[86:87]
	v_fma_f64 v[84:85], v[40:41], s[16:17], v[88:89]
	v_fma_f64 v[86:87], v[42:43], s[16:17], v[90:91]
	v_fma_f64 v[88:89], v[52:53], s[0:1], -v[104:105]
	v_fma_f64 v[90:91], v[54:55], s[0:1], -v[106:107]
	v_fma_f64 v[104:105], v[68:69], s[16:17], v[108:109]
	v_fma_f64 v[106:107], v[70:71], s[16:17], v[110:111]
	;; [unrolled: 1-line block ×4, first 2 shown]
	v_add_f64 v[112:113], v[96:97], v[92:93]
	v_add_f64 v[114:115], v[98:99], v[94:95]
	v_add_f64 v[128:129], v[68:69], v[120:121]
	v_add_f64 v[130:131], v[70:71], v[122:123]
	v_add_f64 v[120:121], v[116:117], v[120:121]
	v_add_f64 v[122:123], v[118:119], v[122:123]
	v_add_f64 v[124:125], v[36:37], v[116:117]
	v_add_f64 v[126:127], v[38:39], v[118:119]
	s_mov_b32 s1, 0xbfebb67a
	s_mov_b32 s0, s10
	v_fma_f64 v[56:57], v[60:61], s[10:11], v[56:57]
	v_fma_f64 v[58:59], v[62:63], s[10:11], v[58:59]
	v_fma_f64 v[64:65], v[116:117], -0.5, v[64:65]
	v_fma_f64 v[66:67], v[118:119], -0.5, v[66:67]
	;; [unrolled: 1-line block ×4, first 2 shown]
	v_fma_f64 v[88:89], v[60:61], s[10:11], v[88:89]
	v_fma_f64 v[90:91], v[62:63], s[10:11], v[90:91]
	v_fma_f64 v[104:105], v[116:117], -0.5, v[104:105]
	v_fma_f64 v[106:107], v[118:119], -0.5, v[106:107]
	v_fma_f64 v[62:63], v[62:63], s[0:1], v[108:109]
	v_fma_f64 v[60:61], v[60:61], s[0:1], v[110:111]
	s_mov_b32 s8, 0x748a0bf8
	s_mov_b32 s16, 0x42522d1b
	;; [unrolled: 1-line block ×4, first 2 shown]
	v_add_f64 v[44:45], v[44:45], v[120:121]
	v_add_f64 v[46:47], v[46:47], v[122:123]
	v_add_f64 v[108:109], v[112:113], -v[52:53]
	v_add_f64 v[110:111], v[114:115], -v[54:55]
	v_fma_f64 v[112:113], v[128:129], -0.5, v[124:125]
	v_fma_f64 v[114:115], v[130:131], -0.5, v[126:127]
	v_fma_f64 v[96:97], v[96:97], s[8:9], v[56:57]
	v_fma_f64 v[98:99], v[98:99], s[8:9], v[58:59]
	;; [unrolled: 1-line block ×12, first 2 shown]
	v_mov_b32_e32 v100, 0x75
	v_add_f64 v[92:93], v[48:49], v[44:45]
	v_add_f64 v[94:95], v[50:51], v[46:47]
	v_mul_f64 v[60:61], v[108:109], s[10:11]
	v_mul_f64 v[62:63], v[110:111], s[10:11]
	v_fma_f64 v[40:41], v[110:111], s[10:11], v[112:113]
	v_fma_f64 v[42:43], v[108:109], s[0:1], v[114:115]
	v_cmp_gt_u16_e64 s0, 13, v254
	v_add_f64 v[44:45], v[98:99], v[56:57]
	v_add_f64 v[46:47], v[58:59], -v[96:97]
	v_add_f64 v[48:49], v[70:71], v[84:85]
	v_add_f64 v[50:51], v[86:87], -v[68:69]
	;; [unrolled: 2-line block ×3, first 2 shown]
	v_add_f64 v[36:37], v[36:37], v[92:93]
	v_add_f64 v[38:39], v[38:39], v[94:95]
	v_fma_f64 v[56:57], v[62:63], -2.0, v[40:41]
	v_fma_f64 v[58:59], v[60:61], 2.0, v[42:43]
	v_fma_f64 v[84:85], v[98:99], -2.0, v[44:45]
	v_fma_f64 v[86:87], v[96:97], 2.0, v[46:47]
	;; [unrolled: 2-line block ×4, first 2 shown]
	v_mul_u32_u24_sdwa v68, v132, v100 dst_sel:DWORD dst_unused:UNUSED_PAD src0_sel:WORD_0 src1_sel:DWORD
	v_add_lshl_u32 v255, v68, v133, 4
	ds_write_b128 v255, v[40:43] offset:624
	ds_write_b128 v255, v[36:39]
	ds_write_b128 v255, v[44:47] offset:208
	ds_write_b128 v255, v[48:51] offset:832
	;; [unrolled: 1-line block ×7, first 2 shown]
	s_waitcnt lgkmcnt(0)
	s_barrier
	buffer_gl0_inv
	ds_read_b128 v[88:91], v253
	ds_read_b128 v[92:95], v253 offset:832
	ds_read_b128 v[108:111], v253 offset:1872
	;; [unrolled: 1-line block ×7, first 2 shown]
	s_and_saveexec_b32 s1, s0
	s_cbranch_execz .LBB0_9
; %bb.8:
	ds_read_b128 v[84:87], v253 offset:1664
	ds_read_b128 v[72:75], v253 offset:3536
	;; [unrolled: 1-line block ×4, first 2 shown]
.LBB0_9:
	s_or_b32 exec_lo, exec_lo, s1
	v_mad_u64_u32 v[36:37], null, v254, 48, s[2:3]
	v_add_nc_u32_e32 v38, 0x68, v254
	v_add_nc_u32_e32 v39, -13, v254
	s_clause 0x2
	global_load_dwordx4 v[48:51], v[36:37], off offset:1696
	global_load_dwordx4 v[52:55], v[36:37], off offset:1680
	;; [unrolled: 1-line block ×3, first 2 shown]
	v_cndmask_b32_e64 v40, v39, v38, s0
	v_add_co_u32 v38, s1, 0x1000, v36
	v_add_co_ci_u32_e64 v39, s1, 0, v37, s1
	v_mul_i32_i24_e32 v41, 48, v40
	v_add_co_u32 v36, s1, 0x1040, v36
	v_mul_hi_i32_i24_e32 v40, 48, v40
	v_add_co_ci_u32_e64 v37, s1, 0, v37, s1
	global_load_dwordx4 v[60:63], v[38:39], off offset:64
	v_add_co_u32 v38, s1, s2, v41
	v_add_co_ci_u32_e64 v39, s1, s3, v40, s1
	s_clause 0x4
	global_load_dwordx4 v[68:71], v[36:37], off offset:16
	global_load_dwordx4 v[64:67], v[36:37], off offset:32
	;; [unrolled: 1-line block ×5, first 2 shown]
	s_waitcnt vmcnt(8) lgkmcnt(1)
	v_mul_f64 v[128:129], v[118:119], v[50:51]
	s_waitcnt vmcnt(7)
	v_mul_f64 v[124:125], v[114:115], v[54:55]
	s_waitcnt vmcnt(6)
	v_mul_f64 v[120:121], v[110:111], v[58:59]
	v_mul_f64 v[122:123], v[108:109], v[58:59]
	;; [unrolled: 1-line block ×4, first 2 shown]
	s_waitcnt vmcnt(5)
	v_mul_f64 v[132:133], v[98:99], v[62:63]
	v_mul_f64 v[134:135], v[96:97], v[62:63]
	s_waitcnt vmcnt(4)
	v_mul_f64 v[137:138], v[102:103], v[70:71]
	v_mul_f64 v[139:140], v[100:101], v[70:71]
	s_waitcnt vmcnt(3) lgkmcnt(0)
	v_mul_f64 v[141:142], v[106:107], v[66:67]
	v_mul_f64 v[143:144], v[104:105], v[66:67]
	s_waitcnt vmcnt(2)
	v_mul_f64 v[145:146], v[74:75], v[46:47]
	v_mul_f64 v[147:148], v[72:73], v[46:47]
	s_waitcnt vmcnt(1)
	;; [unrolled: 3-line block ×3, first 2 shown]
	v_mul_f64 v[153:154], v[82:83], v[38:39]
	v_mul_f64 v[155:156], v[80:81], v[38:39]
	v_fma_f64 v[108:109], v[108:109], v[56:57], -v[120:121]
	v_fma_f64 v[110:111], v[110:111], v[56:57], v[122:123]
	v_fma_f64 v[112:113], v[112:113], v[52:53], -v[124:125]
	v_fma_f64 v[114:115], v[114:115], v[52:53], v[126:127]
	;; [unrolled: 2-line block ×9, first 2 shown]
	v_add_f64 v[112:113], v[88:89], -v[112:113]
	v_add_f64 v[114:115], v[90:91], -v[114:115]
	;; [unrolled: 1-line block ×12, first 2 shown]
	v_fma_f64 v[132:133], v[88:89], 2.0, -v[112:113]
	v_fma_f64 v[134:135], v[90:91], 2.0, -v[114:115]
	v_fma_f64 v[80:81], v[108:109], 2.0, -v[116:117]
	v_fma_f64 v[82:83], v[110:111], 2.0, -v[118:119]
	v_add_f64 v[108:109], v[112:113], -v[118:119]
	v_add_f64 v[110:111], v[114:115], v[116:117]
	v_fma_f64 v[92:93], v[92:93], 2.0, -v[100:101]
	v_fma_f64 v[94:95], v[94:95], 2.0, -v[102:103]
	v_fma_f64 v[96:97], v[96:97], 2.0, -v[104:105]
	v_fma_f64 v[98:99], v[98:99], 2.0, -v[106:107]
	v_add_f64 v[88:89], v[100:101], -v[106:107]
	v_add_f64 v[90:91], v[102:103], v[104:105]
	;; [unrolled: 6-line block ×3, first 2 shown]
	v_add_f64 v[120:121], v[132:133], -v[80:81]
	v_add_f64 v[122:123], v[134:135], -v[82:83]
	v_fma_f64 v[124:125], v[112:113], 2.0, -v[108:109]
	v_fma_f64 v[126:127], v[114:115], 2.0, -v[110:111]
	v_add_f64 v[96:97], v[92:93], -v[96:97]
	v_add_f64 v[98:99], v[94:95], -v[98:99]
	v_fma_f64 v[104:105], v[100:101], 2.0, -v[88:89]
	v_fma_f64 v[106:107], v[102:103], 2.0, -v[90:91]
	;; [unrolled: 4-line block ×3, first 2 shown]
	v_fma_f64 v[74:75], v[134:135], 2.0, -v[122:123]
	v_fma_f64 v[116:117], v[92:93], 2.0, -v[96:97]
	;; [unrolled: 1-line block ×3, first 2 shown]
	ds_write_b128 v253, v[72:75]
	ds_write_b128 v253, v[124:127] offset:1872
	ds_write_b128 v253, v[120:123] offset:3744
	;; [unrolled: 1-line block ×7, first 2 shown]
	v_fma_f64 v[92:93], v[137:138], 2.0, -v[80:81]
	v_fma_f64 v[94:95], v[86:87], 2.0, -v[82:83]
	v_fma_f64 v[86:87], v[130:131], 2.0, -v[78:79]
	s_and_saveexec_b32 s1, s0
	s_cbranch_execz .LBB0_11
; %bb.10:
	ds_write_b128 v253, v[92:95] offset:1664
	ds_write_b128 v253, v[84:87] offset:3536
	;; [unrolled: 1-line block ×4, first 2 shown]
.LBB0_11:
	s_or_b32 exec_lo, exec_lo, s1
	s_waitcnt lgkmcnt(0)
	s_barrier
	buffer_gl0_inv
	s_and_saveexec_b32 s2, vcc_lo
	s_cbranch_execz .LBB0_13
; %bb.12:
	v_add_co_u32 v137, s1, s14, v253
	v_add_co_ci_u32_e64 v138, null, s15, 0, s1
	v_add_co_u32 v100, s1, 0x1800, v137
	v_add_co_ci_u32_e64 v101, s1, 0, v138, s1
	v_add_co_u32 v132, s1, 0x1d40, v137
	v_add_co_ci_u32_e64 v133, s1, 0, v138, s1
	global_load_dwordx4 v[100:103], v[100:101], off offset:1344
	v_add_co_u32 v139, s1, 0x2000, v137
	s_clause 0x2
	global_load_dwordx4 v[112:115], v[132:133], off offset:576
	global_load_dwordx4 v[128:131], v[132:133], off offset:1152
	;; [unrolled: 1-line block ×3, first 2 shown]
	v_add_co_ci_u32_e64 v140, s1, 0, v138, s1
	v_add_co_u32 v155, s1, 0x2800, v137
	v_add_co_ci_u32_e64 v156, s1, 0, v138, s1
	s_clause 0x3
	global_load_dwordx4 v[139:142], v[139:140], off offset:1600
	global_load_dwordx4 v[143:146], v[155:156], off offset:128
	;; [unrolled: 1-line block ×4, first 2 shown]
	v_add_co_u32 v167, s1, 0x3000, v137
	v_add_co_ci_u32_e64 v168, s1, 0, v138, s1
	s_clause 0x2
	global_load_dwordx4 v[155:158], v[155:156], off offset:1856
	global_load_dwordx4 v[159:162], v[167:168], off offset:384
	;; [unrolled: 1-line block ×3, first 2 shown]
	v_add_co_u32 v137, s1, 0x3800, v137
	v_add_co_ci_u32_e64 v138, s1, 0, v138, s1
	s_clause 0x1
	global_load_dwordx4 v[167:170], v[167:168], off offset:1536
	global_load_dwordx4 v[171:174], v[137:138], off offset:64
	ds_read_b128 v[175:178], v253
	ds_read_b128 v[179:182], v253 offset:576
	ds_read_b128 v[183:186], v253 offset:1152
	s_waitcnt vmcnt(12) lgkmcnt(2)
	v_mul_f64 v[137:138], v[177:178], v[102:103]
	v_mul_f64 v[102:103], v[175:176], v[102:103]
	s_waitcnt vmcnt(11) lgkmcnt(1)
	v_mul_f64 v[187:188], v[181:182], v[114:115]
	v_mul_f64 v[114:115], v[179:180], v[114:115]
	v_fma_f64 v[175:176], v[175:176], v[100:101], -v[137:138]
	v_fma_f64 v[177:178], v[177:178], v[100:101], v[102:103]
	ds_read_b128 v[100:103], v253 offset:1728
	s_waitcnt vmcnt(10) lgkmcnt(1)
	v_mul_f64 v[137:138], v[185:186], v[130:131]
	v_mul_f64 v[130:131], v[183:184], v[130:131]
	v_fma_f64 v[179:180], v[179:180], v[112:113], -v[187:188]
	v_fma_f64 v[181:182], v[181:182], v[112:113], v[114:115]
	ds_read_b128 v[112:115], v253 offset:2304
	;; [unrolled: 6-line block ×10, first 2 shown]
	s_waitcnt vmcnt(1) lgkmcnt(1)
	v_mul_f64 v[161:162], v[155:156], v[169:170]
	v_mul_f64 v[169:170], v[153:154], v[169:170]
	v_fma_f64 v[149:150], v[149:150], v[163:164], -v[189:190]
	v_fma_f64 v[151:152], v[151:152], v[163:164], v[165:166]
	s_waitcnt vmcnt(0) lgkmcnt(0)
	v_mul_f64 v[163:164], v[159:160], v[173:174]
	v_mul_f64 v[165:166], v[157:158], v[173:174]
	v_fma_f64 v[153:154], v[153:154], v[167:168], -v[161:162]
	v_fma_f64 v[155:156], v[155:156], v[167:168], v[169:170]
	v_fma_f64 v[157:158], v[157:158], v[171:172], -v[163:164]
	v_fma_f64 v[159:160], v[159:160], v[171:172], v[165:166]
	ds_write_b128 v253, v[175:178]
	ds_write_b128 v253, v[179:182] offset:576
	ds_write_b128 v253, v[183:186] offset:1152
	ds_write_b128 v253, v[100:103] offset:1728
	ds_write_b128 v253, v[112:115] offset:2304
	ds_write_b128 v253, v[128:131] offset:2880
	ds_write_b128 v253, v[132:135] offset:3456
	ds_write_b128 v253, v[137:140] offset:4032
	ds_write_b128 v253, v[141:144] offset:4608
	ds_write_b128 v253, v[145:148] offset:5184
	ds_write_b128 v253, v[149:152] offset:5760
	ds_write_b128 v253, v[153:156] offset:6336
	ds_write_b128 v253, v[157:160] offset:6912
.LBB0_13:
	s_or_b32 exec_lo, exec_lo, s2
	s_waitcnt lgkmcnt(0)
	s_barrier
	buffer_gl0_inv
	s_and_saveexec_b32 s1, vcc_lo
	s_cbranch_execz .LBB0_15
; %bb.14:
	ds_read_b128 v[72:75], v253
	ds_read_b128 v[124:127], v253 offset:576
	ds_read_b128 v[120:123], v253 offset:1152
	;; [unrolled: 1-line block ×12, first 2 shown]
.LBB0_15:
	s_or_b32 exec_lo, exec_lo, s1
	s_waitcnt lgkmcnt(1)
	v_add_f64 v[134:135], v[122:123], -v[78:79]
	s_mov_b32 s8, 0x2ef20147
	s_mov_b32 s9, 0xbfedeba7
	s_waitcnt lgkmcnt(0)
	v_add_f64 v[153:154], v[126:127], -v[2:3]
	s_mov_b32 s2, 0x42a4c3d2
	s_mov_b32 s3, 0xbfea55e2
	v_add_f64 v[151:152], v[0:1], v[124:125]
	v_add_f64 v[185:186], v[2:3], v[126:127]
	s_mov_b32 s10, 0x1ea71119
	s_mov_b32 s11, 0x3fe22d96
	v_add_f64 v[132:133], v[76:77], v[120:121]
	v_add_f64 v[187:188], v[124:125], -v[0:1]
	v_add_f64 v[137:138], v[78:79], v[122:123]
	s_mov_b32 s16, 0xb2365da1
	s_mov_b32 s17, 0xbfd6b1d8
	v_add_f64 v[145:146], v[120:121], -v[76:77]
	v_add_f64 v[141:142], v[110:111], -v[82:83]
	s_mov_b32 s24, 0x4bc48dbf
	s_mov_b32 s25, 0xbfcea1e5
	v_add_f64 v[139:140], v[108:109], v[80:81]
	v_add_f64 v[147:148], v[110:111], v[82:83]
	s_mov_b32 s18, 0x93053d00
	v_mul_f64 v[102:103], v[134:135], s[8:9]
	s_mov_b32 s19, 0xbfef11f4
	v_add_f64 v[159:160], v[108:109], -v[80:81]
	v_mul_f64 v[181:182], v[153:154], s[2:3]
	v_add_f64 v[149:150], v[118:119], -v[86:87]
	v_add_f64 v[143:144], v[116:117], v[84:85]
	v_add_f64 v[155:156], v[118:119], v[86:87]
	v_mul_f64 v[193:194], v[185:186], s[10:11]
	s_mov_b32 s20, 0xd0032e0c
	s_mov_b32 s21, 0xbfe7f3cc
	v_add_f64 v[161:162], v[116:117], -v[84:85]
	v_add_f64 v[175:176], v[106:107], -v[94:95]
	v_mul_f64 v[177:178], v[137:138], s[16:17]
	s_mov_b32 s34, 0x66966769
	s_mov_b32 s35, 0xbfefc445
	;; [unrolled: 1-line block ×3, first 2 shown]
	v_mul_f64 v[179:180], v[141:142], s[24:25]
	s_mov_b32 s28, s34
	v_add_f64 v[157:158], v[92:93], v[104:105]
	v_add_f64 v[167:168], v[94:95], v[106:107]
	v_mul_f64 v[189:190], v[147:148], s[18:19]
	v_add_f64 v[183:184], v[104:105], -v[92:93]
	buffer_store_dword v102, off, s[48:51], 0 ; 4-byte Folded Spill
	buffer_store_dword v103, off, s[48:51], 0 offset:4 ; 4-byte Folded Spill
	v_add_f64 v[165:166], v[98:99], -v[90:91]
	s_mov_b32 s45, 0x3fddbe06
	v_fma_f64 v[100:101], v[151:152], s[10:11], -v[181:182]
	v_mul_f64 v[191:192], v[149:150], s[30:31]
	s_mov_b32 s44, 0x4267c47c
	v_mul_f64 v[199:200], v[155:156], s[20:21]
	v_fma_f64 v[112:113], v[187:188], s[2:3], v[193:194]
	v_add_f64 v[163:164], v[88:89], v[96:97]
	v_add_f64 v[169:170], v[90:91], v[98:99]
	s_mov_b32 s26, 0xe00740e9
	v_mul_f64 v[197:198], v[175:176], s[28:29]
	s_mov_b32 s27, 0x3fec55a7
	v_add_f64 v[171:172], v[96:97], -v[88:89]
	v_mul_f64 v[245:246], v[153:154], s[34:35]
	v_mul_f64 v[223:224], v[134:135], s[24:25]
	;; [unrolled: 1-line block ×4, first 2 shown]
	s_mov_b32 s43, 0x3fedeba7
	v_mul_f64 v[221:222], v[167:168], s[22:23]
	s_mov_b32 s42, s8
	v_mul_f64 v[237:238], v[147:148], s[16:17]
	v_mul_f64 v[225:226], v[141:142], s[42:43]
	;; [unrolled: 1-line block ×4, first 2 shown]
	v_add_f64 v[100:101], v[72:73], v[100:101]
	v_mul_f64 v[239:240], v[155:156], s[26:27]
	v_mul_f64 v[233:234], v[175:176], s[2:3]
	;; [unrolled: 1-line block ×3, first 2 shown]
	s_mov_b32 s39, 0xbfe5384d
	s_mov_b32 s38, s30
	v_mul_f64 v[227:228], v[169:170], s[26:27]
	v_mul_f64 v[235:236], v[165:166], s[38:39]
	;; [unrolled: 1-line block ×6, first 2 shown]
	v_fma_f64 v[114:115], v[132:133], s[18:19], -v[223:224]
	v_mul_f64 v[205:206], v[137:138], s[20:21]
	v_fma_f64 v[128:129], v[145:146], s[24:25], v[229:230]
	v_mul_f64 v[209:210], v[147:148], s[26:27]
	v_mul_f64 v[211:212], v[155:156], s[22:23]
	s_mov_b32 s37, 0x3fcea1e5
	s_mov_b32 s36, s24
	v_mul_f64 v[217:218], v[167:168], s[18:19]
	s_mov_b32 s41, 0x3fea55e2
	s_mov_b32 s40, s2
	s_waitcnt_vscnt null, 0x0
	s_barrier
	buffer_gl0_inv
	v_fma_f64 v[130:131], v[132:133], s[20:21], -v[195:196]
	v_fma_f64 v[201:202], v[145:146], s[30:31], v[205:206]
	v_fma_f64 v[102:103], v[132:133], s[16:17], -v[102:103]
	v_add_f64 v[100:101], v[102:103], v[100:101]
	v_add_f64 v[102:103], v[74:75], v[112:113]
	v_fma_f64 v[112:113], v[145:146], s[8:9], v[177:178]
	v_add_f64 v[102:103], v[112:113], v[102:103]
	v_fma_f64 v[112:113], v[139:140], s[18:19], -v[179:180]
	v_add_f64 v[100:101], v[112:113], v[100:101]
	v_fma_f64 v[112:113], v[159:160], s[24:25], v[189:190]
	v_add_f64 v[102:103], v[112:113], v[102:103]
	v_fma_f64 v[112:113], v[143:144], s[20:21], -v[191:192]
	v_add_f64 v[100:101], v[112:113], v[100:101]
	v_fma_f64 v[112:113], v[161:162], s[30:31], v[199:200]
	v_add_f64 v[102:103], v[112:113], v[102:103]
	v_fma_f64 v[112:113], v[157:158], s[22:23], -v[197:198]
	v_add_f64 v[100:101], v[112:113], v[100:101]
	v_fma_f64 v[112:113], v[183:184], s[28:29], v[221:222]
	v_add_f64 v[102:103], v[112:113], v[102:103]
	v_fma_f64 v[112:113], v[163:164], s[26:27], -v[219:220]
	v_add_f64 v[100:101], v[112:113], v[100:101]
	v_fma_f64 v[112:113], v[171:172], s[44:45], v[227:228]
	v_add_f64 v[102:103], v[112:113], v[102:103]
	v_fma_f64 v[112:113], v[151:152], s[22:23], -v[245:246]
	v_add_f64 v[112:113], v[72:73], v[112:113]
	v_add_f64 v[112:113], v[114:115], v[112:113]
	v_fma_f64 v[114:115], v[187:188], s[34:35], v[247:248]
	v_add_f64 v[114:115], v[74:75], v[114:115]
	v_add_f64 v[114:115], v[128:129], v[114:115]
	v_fma_f64 v[128:129], v[139:140], s[16:17], -v[225:226]
	v_add_f64 v[112:113], v[128:129], v[112:113]
	v_fma_f64 v[128:129], v[159:160], s[42:43], v[237:238]
	v_add_f64 v[114:115], v[128:129], v[114:115]
	v_fma_f64 v[128:129], v[143:144], s[26:27], -v[231:232]
	v_add_f64 v[112:113], v[128:129], v[112:113]
	v_fma_f64 v[128:129], v[161:162], s[44:45], v[239:240]
	;; [unrolled: 4-line block ×4, first 2 shown]
	v_add_f64 v[114:115], v[128:129], v[114:115]
	v_fma_f64 v[128:129], v[151:152], s[16:17], -v[249:250]
	v_add_f64 v[128:129], v[72:73], v[128:129]
	v_add_f64 v[128:129], v[130:131], v[128:129]
	v_fma_f64 v[130:131], v[187:188], s[8:9], v[251:252]
	v_add_f64 v[130:131], v[74:75], v[130:131]
	v_add_f64 v[130:131], v[201:202], v[130:131]
	v_mul_f64 v[201:202], v[141:142], s[44:45]
	v_fma_f64 v[203:204], v[139:140], s[26:27], -v[201:202]
	v_add_f64 v[128:129], v[203:204], v[128:129]
	v_fma_f64 v[203:204], v[159:160], s[44:45], v[209:210]
	v_add_f64 v[130:131], v[203:204], v[130:131]
	v_mul_f64 v[203:204], v[149:150], s[34:35]
	v_fma_f64 v[207:208], v[143:144], s[22:23], -v[203:204]
	v_add_f64 v[128:129], v[207:208], v[128:129]
	v_fma_f64 v[207:208], v[161:162], s[34:35], v[211:212]
	v_add_f64 v[130:131], v[207:208], v[130:131]
	v_mul_f64 v[207:208], v[175:176], s[36:37]
	v_fma_f64 v[213:214], v[157:158], s[18:19], -v[207:208]
	v_add_f64 v[128:129], v[213:214], v[128:129]
	v_fma_f64 v[213:214], v[183:184], s[36:37], v[217:218]
	v_add_f64 v[130:131], v[213:214], v[130:131]
	v_mul_f64 v[213:214], v[165:166], s[40:41]
	v_fma_f64 v[215:216], v[163:164], s[10:11], -v[213:214]
	v_add_f64 v[128:129], v[215:216], v[128:129]
	v_mul_f64 v[215:216], v[169:170], s[10:11]
	v_fma_f64 v[173:174], v[171:172], s[40:41], v[215:216]
	v_add_f64 v[130:131], v[173:174], v[130:131]
	s_and_saveexec_b32 s1, vcc_lo
	s_cbranch_execz .LBB0_17
; %bb.16:
	v_add_f64 v[124:125], v[72:73], v[124:125]
	v_add_f64 v[126:127], v[74:75], v[126:127]
	;; [unrolled: 1-line block ×4, first 2 shown]
	v_mul_f64 v[124:125], v[153:154], s[38:39]
	v_add_f64 v[108:109], v[108:109], v[120:121]
	v_add_f64 v[110:111], v[110:111], v[122:123]
	v_mul_f64 v[122:123], v[153:154], s[24:25]
	v_fma_f64 v[173:174], v[151:152], s[20:21], -v[124:125]
	v_fma_f64 v[124:125], v[151:152], s[20:21], v[124:125]
	v_add_f64 v[108:109], v[116:117], v[108:109]
	v_add_f64 v[110:111], v[118:119], v[110:111]
	;; [unrolled: 1-line block ×5, first 2 shown]
	v_mul_f64 v[108:109], v[187:188], s[38:39]
	v_add_f64 v[96:97], v[96:97], v[104:105]
	v_add_f64 v[98:99], v[98:99], v[106:107]
	v_mul_f64 v[104:105], v[175:176], s[44:45]
	v_mul_f64 v[106:107], v[187:188], s[24:25]
	v_fma_f64 v[118:119], v[185:186], s[20:21], v[108:109]
	v_fma_f64 v[108:109], v[185:186], s[20:21], -v[108:109]
	v_add_f64 v[88:89], v[88:89], v[96:97]
	v_add_f64 v[90:91], v[90:91], v[98:99]
	v_mul_f64 v[96:97], v[161:162], s[44:45]
	v_mul_f64 v[98:99], v[171:172], s[44:45]
	v_fma_f64 v[116:117], v[185:186], s[18:19], v[106:107]
	v_fma_f64 v[106:107], v[185:186], s[18:19], -v[106:107]
	v_add_f64 v[118:119], v[74:75], v[118:119]
	v_add_f64 v[108:109], v[74:75], v[108:109]
	;; [unrolled: 1-line block ×4, first 2 shown]
	v_mul_f64 v[92:93], v[159:160], s[44:45]
	v_mul_f64 v[94:95], v[183:184], s[44:45]
	v_add_f64 v[116:117], v[74:75], v[116:117]
	v_add_f64 v[106:107], v[74:75], v[106:107]
	v_add_f64 v[98:99], v[227:228], -v[98:99]
	v_add_f64 v[96:97], v[239:240], -v[96:97]
	v_add_f64 v[84:85], v[84:85], v[88:89]
	v_add_f64 v[86:87], v[86:87], v[90:91]
	v_mul_f64 v[88:89], v[145:146], s[44:45]
	v_mul_f64 v[90:91], v[134:135], s[44:45]
	s_mov_b32 s45, 0xbfddbe06
	v_add_f64 v[92:93], v[209:210], -v[92:93]
	v_mul_f64 v[110:111], v[187:188], s[44:45]
	v_mul_f64 v[126:127], v[153:154], s[44:45]
	v_fma_f64 v[153:154], v[151:152], s[18:19], -v[122:123]
	v_fma_f64 v[122:123], v[151:152], s[18:19], v[122:123]
	v_mul_f64 v[209:210], v[132:133], s[20:21]
	v_add_f64 v[80:81], v[80:81], v[84:85]
	v_add_f64 v[82:83], v[82:83], v[86:87]
	v_mul_f64 v[84:85], v[151:152], s[22:23]
	v_mul_f64 v[86:87], v[151:152], s[10:11]
	v_fma_f64 v[120:121], v[185:186], s[26:27], -v[110:111]
	v_fma_f64 v[110:111], v[185:186], s[26:27], v[110:111]
	v_add_f64 v[122:123], v[72:73], v[122:123]
	v_add_f64 v[195:196], v[209:210], v[195:196]
	v_mul_f64 v[209:210], v[139:140], s[26:27]
	v_add_f64 v[76:77], v[76:77], v[80:81]
	v_add_f64 v[78:79], v[78:79], v[82:83]
	v_mul_f64 v[80:81], v[151:152], s[16:17]
	v_mul_f64 v[82:83], v[187:188], s[2:3]
	v_add_f64 v[84:85], v[84:85], v[245:246]
	v_add_f64 v[86:87], v[86:87], v[181:182]
	v_fma_f64 v[181:182], v[151:152], s[26:27], v[126:127]
	v_fma_f64 v[126:127], v[151:152], s[26:27], -v[126:127]
	v_add_f64 v[151:152], v[72:73], v[153:154]
	v_add_f64 v[153:154], v[72:73], v[173:174]
	;; [unrolled: 1-line block ×3, first 2 shown]
	v_mul_f64 v[245:246], v[175:176], s[8:9]
	v_add_f64 v[201:202], v[209:210], v[201:202]
	v_mul_f64 v[209:210], v[143:144], s[22:23]
	v_mul_f64 v[175:176], v[175:176], s[38:39]
	v_add_f64 v[0:1], v[0:1], v[76:77]
	v_mul_f64 v[76:77], v[187:188], s[8:9]
	v_add_f64 v[2:3], v[2:3], v[78:79]
	;; [unrolled: 2-line block ×3, first 2 shown]
	v_add_f64 v[82:83], v[193:194], -v[82:83]
	v_mul_f64 v[193:194], v[183:184], s[8:9]
	v_mul_f64 v[249:250], v[165:166], s[28:29]
	v_add_f64 v[203:204], v[209:210], v[203:204]
	v_mul_f64 v[209:210], v[157:158], s[18:19]
	v_add_f64 v[76:77], v[251:252], -v[76:77]
	s_clause 0x1
	buffer_load_dword v251, off, s[48:51], 0
	buffer_load_dword v252, off, s[48:51], 0 offset:4
	v_add_f64 v[78:79], v[247:248], -v[78:79]
	v_add_f64 v[187:188], v[72:73], v[80:81]
	v_mul_f64 v[247:248], v[171:172], s[28:29]
	v_add_f64 v[207:208], v[209:210], v[207:208]
	v_mul_f64 v[209:210], v[171:172], s[40:41]
	v_add_f64 v[173:174], v[74:75], v[76:77]
	v_add_f64 v[76:77], v[74:75], v[82:83]
	;; [unrolled: 1-line block ×8, first 2 shown]
	v_fma_f64 v[72:73], v[137:138], s[26:27], v[88:89]
	v_fma_f64 v[74:75], v[132:133], s[26:27], -v[90:91]
	v_mul_f64 v[126:127], v[141:142], s[38:39]
	v_mul_f64 v[181:182], v[149:150], s[40:41]
	v_fma_f64 v[88:89], v[137:138], s[26:27], -v[88:89]
	v_fma_f64 v[90:91], v[132:133], s[26:27], v[90:91]
	v_add_f64 v[187:188], v[195:196], v[187:188]
	v_add_f64 v[209:210], v[215:216], -v[209:210]
	v_add_f64 v[72:73], v[72:73], v[116:117]
	v_mul_f64 v[116:117], v[159:160], s[38:39]
	v_add_f64 v[74:75], v[74:75], v[151:152]
	v_mul_f64 v[151:152], v[161:162], s[40:41]
	;; [unrolled: 2-line block ×3, first 2 shown]
	v_add_f64 v[90:91], v[90:91], v[122:123]
	v_fma_f64 v[80:81], v[147:148], s[20:21], v[116:117]
	v_fma_f64 v[116:117], v[147:148], s[20:21], -v[116:117]
	v_fma_f64 v[122:123], v[137:138], s[22:23], v[106:107]
	v_fma_f64 v[106:107], v[137:138], s[22:23], -v[106:107]
	v_add_f64 v[72:73], v[80:81], v[72:73]
	v_fma_f64 v[80:81], v[139:140], s[20:21], -v[126:127]
	v_add_f64 v[88:89], v[116:117], v[88:89]
	v_fma_f64 v[116:117], v[139:140], s[20:21], v[126:127]
	v_add_f64 v[118:119], v[122:123], v[118:119]
	v_add_f64 v[106:107], v[106:107], v[108:109]
	v_mul_f64 v[108:109], v[134:135], s[28:29]
	v_mul_f64 v[126:127], v[159:160], s[2:3]
	v_add_f64 v[74:75], v[80:81], v[74:75]
	v_fma_f64 v[80:81], v[155:156], s[10:11], v[151:152]
	v_add_f64 v[90:91], v[116:117], v[90:91]
	v_fma_f64 v[122:123], v[132:133], s[22:23], -v[108:109]
	v_fma_f64 v[108:109], v[132:133], s[22:23], v[108:109]
	v_add_f64 v[72:73], v[80:81], v[72:73]
	v_fma_f64 v[80:81], v[143:144], s[10:11], -v[181:182]
	v_add_f64 v[122:123], v[122:123], v[153:154]
	v_add_f64 v[108:109], v[108:109], v[124:125]
	v_fma_f64 v[124:125], v[155:156], s[10:11], -v[151:152]
	v_add_f64 v[74:75], v[80:81], v[74:75]
	v_fma_f64 v[80:81], v[167:168], s[16:17], v[193:194]
	v_add_f64 v[88:89], v[124:125], v[88:89]
	v_fma_f64 v[124:125], v[143:144], s[10:11], v[181:182]
	v_add_f64 v[72:73], v[80:81], v[72:73]
	v_fma_f64 v[80:81], v[157:158], s[16:17], -v[245:246]
	v_add_f64 v[90:91], v[124:125], v[90:91]
	v_mul_f64 v[124:125], v[161:162], s[36:37]
	v_add_f64 v[80:81], v[80:81], v[74:75]
	v_fma_f64 v[74:75], v[169:170], s[22:23], v[247:248]
	v_add_f64 v[74:75], v[74:75], v[72:73]
	v_fma_f64 v[72:73], v[163:164], s[22:23], -v[249:250]
	v_add_f64 v[72:73], v[72:73], v[80:81]
	v_mul_f64 v[80:81], v[145:146], s[8:9]
	v_add_f64 v[80:81], v[177:178], -v[80:81]
	v_mul_f64 v[177:178], v[132:133], s[16:17]
	v_add_f64 v[76:77], v[80:81], v[76:77]
	v_mul_f64 v[80:81], v[183:184], s[28:29]
	s_waitcnt vmcnt(0)
	v_add_f64 v[177:178], v[177:178], v[251:252]
	v_mul_f64 v[251:252], v[159:160], s[24:25]
	v_add_f64 v[80:81], v[221:222], -v[80:81]
	v_add_f64 v[78:79], v[177:178], v[78:79]
	v_add_f64 v[189:190], v[189:190], -v[251:252]
	v_mul_f64 v[251:252], v[139:140], s[18:19]
	v_mul_f64 v[177:178], v[157:158], s[22:23]
	v_add_f64 v[76:77], v[189:190], v[76:77]
	v_add_f64 v[179:180], v[251:252], v[179:180]
	v_mul_f64 v[251:252], v[161:162], s[30:31]
	v_add_f64 v[177:178], v[177:178], v[197:198]
	v_mul_f64 v[189:190], v[143:144], s[26:27]
	v_add_f64 v[78:79], v[179:180], v[78:79]
	v_add_f64 v[199:200], v[199:200], -v[251:252]
	v_mul_f64 v[251:252], v[143:144], s[20:21]
	v_mul_f64 v[179:180], v[163:164], s[26:27]
	v_add_f64 v[189:190], v[189:190], v[231:232]
	v_add_f64 v[76:77], v[199:200], v[76:77]
	;; [unrolled: 1-line block ×4, first 2 shown]
	v_mul_f64 v[199:200], v[171:172], s[24:25]
	v_mul_f64 v[219:220], v[165:166], s[24:25]
	v_add_f64 v[76:77], v[80:81], v[76:77]
	v_add_f64 v[78:79], v[191:192], v[78:79]
	v_mul_f64 v[191:192], v[183:184], s[2:3]
	v_add_f64 v[80:81], v[177:178], v[78:79]
	v_add_f64 v[78:79], v[98:99], v[76:77]
	v_mul_f64 v[98:99], v[132:133], s[18:19]
	v_mul_f64 v[177:178], v[159:160], s[42:43]
	v_add_f64 v[191:192], v[241:242], -v[191:192]
	v_add_f64 v[76:77], v[179:180], v[80:81]
	v_mul_f64 v[80:81], v[145:146], s[24:25]
	v_add_f64 v[98:99], v[98:99], v[223:224]
	v_mul_f64 v[179:180], v[139:140], s[16:17]
	v_add_f64 v[177:178], v[237:238], -v[177:178]
	v_add_f64 v[80:81], v[229:230], -v[80:81]
	v_add_f64 v[82:83], v[98:99], v[82:83]
	v_add_f64 v[179:180], v[179:180], v[225:226]
	v_mul_f64 v[98:99], v[157:158], s[10:11]
	v_add_f64 v[80:81], v[80:81], v[185:186]
	v_add_f64 v[82:83], v[179:180], v[82:83]
	;; [unrolled: 1-line block ×4, first 2 shown]
	v_mul_f64 v[177:178], v[171:172], s[38:39]
	v_add_f64 v[82:83], v[189:190], v[82:83]
	v_add_f64 v[80:81], v[96:97], v[80:81]
	v_mul_f64 v[96:97], v[163:164], s[20:21]
	v_add_f64 v[177:178], v[243:244], -v[177:178]
	v_add_f64 v[98:99], v[98:99], v[82:83]
	v_add_f64 v[80:81], v[191:192], v[80:81]
	;; [unrolled: 1-line block ×5, first 2 shown]
	v_mul_f64 v[96:97], v[145:146], s[2:3]
	v_fma_f64 v[98:99], v[137:138], s[10:11], -v[96:97]
	v_add_f64 v[84:85], v[98:99], v[84:85]
	v_mul_f64 v[98:99], v[134:135], s[2:3]
	v_add_f64 v[134:135], v[201:202], v[187:188]
	v_fma_f64 v[177:178], v[132:133], s[10:11], v[98:99]
	v_add_f64 v[116:117], v[203:204], v[134:135]
	v_fma_f64 v[134:135], v[147:148], s[10:11], v[126:127]
	v_fma_f64 v[126:127], v[147:148], s[10:11], -v[126:127]
	v_fma_f64 v[98:99], v[132:133], s[10:11], -v[98:99]
	v_fma_f64 v[132:133], v[169:170], s[18:19], v[199:200]
	v_add_f64 v[86:87], v[177:178], v[86:87]
	v_mul_f64 v[177:178], v[159:160], s[34:35]
	v_add_f64 v[118:119], v[134:135], v[118:119]
	v_add_f64 v[106:107], v[126:127], v[106:107]
	v_fma_f64 v[126:127], v[155:156], s[18:19], v[124:125]
	v_fma_f64 v[124:125], v[155:156], s[18:19], -v[124:125]
	v_add_f64 v[98:99], v[98:99], v[120:121]
	v_fma_f64 v[120:121], v[157:158], s[20:21], -v[175:176]
	v_add_f64 v[116:117], v[207:208], v[116:117]
	;; [unrolled: 2-line block ×3, first 2 shown]
	v_mul_f64 v[126:127], v[141:142], s[2:3]
	v_add_f64 v[106:107], v[124:125], v[106:107]
	v_add_f64 v[84:85], v[179:180], v[84:85]
	v_mul_f64 v[179:180], v[141:142], s[34:35]
	v_fma_f64 v[124:125], v[139:140], s[10:11], v[126:127]
	v_fma_f64 v[134:135], v[139:140], s[10:11], -v[126:127]
	v_fma_f64 v[185:186], v[139:140], s[22:23], v[179:180]
	v_add_f64 v[108:109], v[124:125], v[108:109]
	v_fma_f64 v[124:125], v[167:168], s[16:17], -v[193:194]
	v_add_f64 v[122:123], v[134:135], v[122:123]
	v_add_f64 v[86:87], v[185:186], v[86:87]
	v_mul_f64 v[185:186], v[161:162], s[8:9]
	v_add_f64 v[124:125], v[124:125], v[88:89]
	v_fma_f64 v[88:89], v[157:158], s[16:17], v[245:246]
	v_fma_f64 v[189:190], v[155:156], s[16:17], -v[185:186]
	v_add_f64 v[126:127], v[88:89], v[90:91]
	v_fma_f64 v[88:89], v[167:168], s[26:27], v[94:95]
	v_mul_f64 v[90:91], v[149:150], s[36:37]
	v_fma_f64 v[94:95], v[167:168], s[26:27], -v[94:95]
	v_add_f64 v[84:85], v[189:190], v[84:85]
	v_mul_f64 v[189:190], v[149:150], s[8:9]
	v_add_f64 v[118:119], v[88:89], v[118:119]
	v_fma_f64 v[88:89], v[137:138], s[10:11], v[96:97]
	v_fma_f64 v[96:97], v[143:144], s[18:19], -v[90:91]
	v_add_f64 v[106:107], v[94:95], v[106:107]
	v_fma_f64 v[94:95], v[139:140], s[22:23], -v[179:180]
	v_fma_f64 v[90:91], v[143:144], s[18:19], v[90:91]
	v_fma_f64 v[137:138], v[163:164], s[22:23], v[249:250]
	;; [unrolled: 1-line block ×3, first 2 shown]
	v_add_f64 v[88:89], v[88:89], v[110:111]
	v_add_f64 v[96:97], v[96:97], v[122:123]
	v_fma_f64 v[122:123], v[147:148], s[22:23], v[177:178]
	v_fma_f64 v[110:111], v[155:156], s[16:17], v[185:186]
	v_add_f64 v[90:91], v[90:91], v[108:109]
	v_fma_f64 v[108:109], v[143:144], s[16:17], -v[189:190]
	v_add_f64 v[94:95], v[94:95], v[98:99]
	v_fma_f64 v[143:144], v[163:164], s[18:19], -v[219:220]
	v_add_f64 v[86:87], v[191:192], v[86:87]
	v_mul_f64 v[191:192], v[183:184], s[38:39]
	v_mul_f64 v[183:184], v[183:184], s[36:37]
	v_add_f64 v[88:89], v[122:123], v[88:89]
	v_add_f64 v[94:95], v[108:109], v[94:95]
	v_fma_f64 v[197:198], v[167:168], s[20:21], -v[191:192]
	v_fma_f64 v[98:99], v[167:168], s[20:21], v[191:192]
	v_add_f64 v[183:184], v[217:218], -v[183:184]
	v_add_f64 v[88:89], v[110:111], v[88:89]
	v_fma_f64 v[110:111], v[157:158], s[26:27], v[104:105]
	v_fma_f64 v[104:105], v[157:158], s[26:27], -v[104:105]
	v_add_f64 v[120:121], v[120:121], v[94:95]
	v_add_f64 v[84:85], v[197:198], v[84:85]
	v_fma_f64 v[197:198], v[157:158], s[20:21], v[175:176]
	v_add_f64 v[134:135], v[98:99], v[88:89]
	v_add_f64 v[108:109], v[110:111], v[90:91]
	v_mul_f64 v[90:91], v[171:172], s[8:9]
	v_mul_f64 v[88:89], v[165:166], s[8:9]
	v_add_f64 v[104:105], v[104:105], v[96:97]
	v_fma_f64 v[96:97], v[169:170], s[22:23], -v[247:248]
	v_add_f64 v[197:198], v[197:198], v[86:87]
	v_fma_f64 v[86:87], v[169:170], s[18:19], -v[199:200]
	v_fma_f64 v[122:123], v[169:170], s[16:17], -v[90:91]
	v_fma_f64 v[139:140], v[163:164], s[16:17], v[88:89]
	v_fma_f64 v[110:111], v[169:170], s[16:17], v[90:91]
	v_fma_f64 v[141:142], v[163:164], s[16:17], -v[88:89]
	v_add_f64 v[94:95], v[96:97], v[124:125]
	v_add_f64 v[86:87], v[86:87], v[84:85]
	v_fma_f64 v[84:85], v[163:164], s[18:19], v[219:220]
	v_add_f64 v[98:99], v[122:123], v[106:107]
	v_add_f64 v[96:97], v[139:140], v[108:109]
	;; [unrolled: 1-line block ×7, first 2 shown]
	v_mul_f64 v[197:198], v[145:146], s[30:31]
	v_add_f64 v[197:198], v[205:206], -v[197:198]
	v_mul_f64 v[205:206], v[161:162], s[34:35]
	v_add_f64 v[173:174], v[197:198], v[173:174]
	v_add_f64 v[205:206], v[211:212], -v[205:206]
	v_mul_f64 v[211:212], v[163:164], s[10:11]
	v_add_f64 v[92:93], v[92:93], v[173:174]
	v_add_f64 v[211:212], v[211:212], v[213:214]
	v_add_f64 v[92:93], v[205:206], v[92:93]
	v_add_f64 v[88:89], v[211:212], v[116:117]
	v_mov_b32_e32 v116, 4
	v_mul_lo_u16 v117, v254, 13
	v_lshlrev_b32_sdwa v116, v116, v117 dst_sel:DWORD dst_unused:UNUSED_PAD src0_sel:DWORD src1_sel:WORD_0
	v_add_f64 v[92:93], v[183:184], v[92:93]
	v_add_f64 v[90:91], v[209:210], v[92:93]
	;; [unrolled: 1-line block ×3, first 2 shown]
	ds_write_b128 v116, v[0:3]
	ds_write_b128 v116, v[84:87] offset:16
	ds_write_b128 v116, v[76:79] offset:32
	;; [unrolled: 1-line block ×12, first 2 shown]
.LBB0_17:
	s_or_b32 exec_lo, exec_lo, s1
	s_waitcnt lgkmcnt(0)
	s_barrier
	buffer_gl0_inv
	ds_read_b128 v[0:3], v253 offset:832
	ds_read_b128 v[72:75], v253 offset:6656
	;; [unrolled: 1-line block ×8, first 2 shown]
	s_mov_b32 s8, 0x8c811c17
	s_mov_b32 s10, 0xa2cf5039
	;; [unrolled: 1-line block ×8, first 2 shown]
	s_waitcnt lgkmcnt(7)
	v_mul_f64 v[104:105], v[14:15], v[2:3]
	v_mul_f64 v[14:15], v[14:15], v[0:1]
	s_waitcnt lgkmcnt(6)
	v_mul_f64 v[106:107], v[22:23], v[74:75]
	v_mul_f64 v[22:23], v[22:23], v[72:73]
	;; [unrolled: 3-line block ×6, first 2 shown]
	v_fma_f64 v[104:105], v[12:13], v[0:1], v[104:105]
	v_fma_f64 v[12:13], v[12:13], v[2:3], -v[14:15]
	ds_read_b128 v[0:3], v253
	v_fma_f64 v[14:15], v[20:21], v[72:73], v[106:107]
	v_fma_f64 v[20:21], v[20:21], v[74:75], -v[22:23]
	v_fma_f64 v[22:23], v[16:17], v[76:77], v[108:109]
	v_fma_f64 v[16:17], v[16:17], v[78:79], -v[18:19]
	;; [unrolled: 2-line block ×5, first 2 shown]
	s_waitcnt lgkmcnt(2)
	v_mul_f64 v[26:27], v[10:11], v[94:95]
	v_mul_f64 v[10:11], v[10:11], v[92:93]
	s_waitcnt lgkmcnt(1)
	v_mul_f64 v[72:73], v[6:7], v[98:99]
	v_mul_f64 v[6:7], v[6:7], v[96:97]
	s_waitcnt lgkmcnt(0)
	s_barrier
	buffer_gl0_inv
	v_add_f64 v[74:75], v[104:105], -v[14:15]
	v_add_f64 v[76:77], v[12:13], -v[20:21]
	v_add_f64 v[14:15], v[104:105], v[14:15]
	v_add_f64 v[12:13], v[12:13], v[20:21]
	;; [unrolled: 1-line block ×4, first 2 shown]
	v_add_f64 v[80:81], v[22:23], -v[18:19]
	v_add_f64 v[82:83], v[16:17], -v[32:33]
	v_add_f64 v[84:85], v[34:35], v[30:31]
	v_add_f64 v[86:87], v[28:29], v[24:25]
	v_fma_f64 v[26:27], v[8:9], v[92:93], v[26:27]
	v_fma_f64 v[8:9], v[8:9], v[94:95], -v[10:11]
	v_fma_f64 v[10:11], v[4:5], v[96:97], v[72:73]
	v_fma_f64 v[4:5], v[4:5], v[98:99], -v[6:7]
	v_add_f64 v[6:7], v[34:35], -v[30:31]
	v_add_f64 v[24:25], v[28:29], -v[24:25]
	v_mul_f64 v[28:29], v[74:75], s[2:3]
	v_mul_f64 v[30:31], v[76:77], s[2:3]
	v_fma_f64 v[34:35], v[14:15], s[10:11], v[0:1]
	v_fma_f64 v[72:73], v[12:13], s[10:11], v[2:3]
	s_mov_b32 s3, 0xbfe491b7
	v_fma_f64 v[88:89], v[20:21], s[10:11], v[0:1]
	v_fma_f64 v[90:91], v[78:79], s[10:11], v[2:3]
	v_mul_f64 v[92:93], v[80:81], s[8:9]
	v_mul_f64 v[94:95], v[82:83], s[8:9]
	v_fma_f64 v[96:97], v[84:85], s[10:11], v[0:1]
	v_fma_f64 v[98:99], v[86:87], s[10:11], v[2:3]
	v_mul_f64 v[104:105], v[82:83], s[2:3]
	v_mul_f64 v[106:107], v[80:81], s[2:3]
	v_add_f64 v[108:109], v[26:27], v[10:11]
	v_add_f64 v[110:111], v[8:9], v[4:5]
	;; [unrolled: 1-line block ×4, first 2 shown]
	v_add_f64 v[10:11], v[26:27], -v[10:11]
	v_add_f64 v[4:5], v[8:9], -v[4:5]
	s_mov_b32 s10, 0xe8584cab
	s_mov_b32 s11, 0x3febb67a
	v_fma_f64 v[8:9], v[6:7], s[8:9], v[28:29]
	v_fma_f64 v[26:27], v[24:25], s[8:9], v[30:31]
	v_fma_f64 v[28:29], v[84:85], s[16:17], v[34:35]
	v_fma_f64 v[30:31], v[86:87], s[16:17], v[72:73]
	v_fma_f64 v[34:35], v[14:15], s[16:17], v[88:89]
	v_fma_f64 v[72:73], v[12:13], s[16:17], v[90:91]
	v_fma_f64 v[88:89], v[6:7], s[2:3], -v[92:93]
	v_fma_f64 v[90:91], v[24:25], s[2:3], -v[94:95]
	v_fma_f64 v[92:93], v[20:21], s[16:17], v[96:97]
	v_fma_f64 v[94:95], v[78:79], s[16:17], v[98:99]
	;; [unrolled: 1-line block ×4, first 2 shown]
	v_add_f64 v[104:105], v[80:81], v[74:75]
	v_add_f64 v[106:107], v[82:83], v[76:77]
	;; [unrolled: 1-line block ×8, first 2 shown]
	s_mov_b32 s3, 0xbfebb67a
	s_mov_b32 s2, s10
	v_fma_f64 v[8:9], v[10:11], s[10:11], v[8:9]
	v_fma_f64 v[26:27], v[4:5], s[10:11], v[26:27]
	v_fma_f64 v[28:29], v[108:109], -0.5, v[28:29]
	v_fma_f64 v[30:31], v[110:111], -0.5, v[30:31]
	v_fma_f64 v[34:35], v[108:109], -0.5, v[34:35]
	v_fma_f64 v[72:73], v[110:111], -0.5, v[72:73]
	v_fma_f64 v[88:89], v[10:11], s[10:11], v[88:89]
	v_fma_f64 v[90:91], v[4:5], s[10:11], v[90:91]
	v_fma_f64 v[92:93], v[108:109], -0.5, v[92:93]
	v_fma_f64 v[94:95], v[110:111], -0.5, v[94:95]
	v_fma_f64 v[4:5], v[4:5], s[2:3], v[96:97]
	v_fma_f64 v[10:11], v[10:11], s[2:3], v[98:99]
	v_add_f64 v[96:97], v[104:105], -v[6:7]
	v_add_f64 v[98:99], v[106:107], -v[24:25]
	s_mov_b32 s8, 0x748a0bf8
	v_fma_f64 v[104:105], v[124:125], -0.5, v[120:121]
	s_mov_b32 s16, 0x42522d1b
	v_add_f64 v[22:23], v[22:23], v[116:117]
	v_add_f64 v[16:17], v[16:17], v[118:119]
	s_mov_b32 s9, 0x3fd5e3a8
	s_mov_b32 s17, 0xbfee11f6
	v_fma_f64 v[106:107], v[126:127], -0.5, v[122:123]
	v_fma_f64 v[80:81], v[80:81], s[8:9], v[8:9]
	v_fma_f64 v[82:83], v[82:83], s[8:9], v[26:27]
	;; [unrolled: 1-line block ×12, first 2 shown]
	v_mul_f64 v[78:79], v[96:97], s[10:11]
	v_mul_f64 v[24:25], v[98:99], s[10:11]
	v_fma_f64 v[4:5], v[98:99], s[2:3], v[104:105]
	v_add_f64 v[22:23], v[18:19], v[22:23]
	v_add_f64 v[32:33], v[32:33], v[16:17]
	v_fma_f64 v[6:7], v[96:97], s[10:11], v[106:107]
	v_add_f64 v[8:9], v[8:9], -v[82:83]
	v_add_f64 v[10:11], v[80:81], v[20:21]
	v_add_f64 v[12:13], v[14:15], -v[34:35]
	v_add_f64 v[14:15], v[30:31], v[72:73]
	;; [unrolled: 2-line block ×3, first 2 shown]
	v_fma_f64 v[20:21], v[24:25], 2.0, v[4:5]
	v_add_f64 v[24:25], v[0:1], v[22:23]
	v_add_f64 v[26:27], v[2:3], v[32:33]
	v_fma_f64 v[22:23], v[78:79], -2.0, v[6:7]
	v_fma_f64 v[0:1], v[82:83], 2.0, v[8:9]
	v_fma_f64 v[2:3], v[80:81], -2.0, v[10:11]
	v_fma_f64 v[28:29], v[34:35], 2.0, v[12:13]
	;; [unrolled: 2-line block ×3, first 2 shown]
	v_fma_f64 v[34:35], v[76:77], -2.0, v[18:19]
	ds_write_b128 v255, v[4:7] offset:624
	ds_write_b128 v255, v[24:27]
	ds_write_b128 v255, v[8:11] offset:208
	ds_write_b128 v255, v[12:15] offset:832
	;; [unrolled: 1-line block ×7, first 2 shown]
	s_waitcnt lgkmcnt(0)
	s_barrier
	buffer_gl0_inv
	ds_read_b128 v[4:7], v253
	ds_read_b128 v[8:11], v253 offset:832
	ds_read_b128 v[24:27], v253 offset:1872
	;; [unrolled: 1-line block ×7, first 2 shown]
	s_and_saveexec_b32 s1, s0
	s_cbranch_execz .LBB0_19
; %bb.18:
	ds_read_b128 v[0:3], v253 offset:1664
	ds_read_b128 v[128:131], v253 offset:3536
	;; [unrolled: 1-line block ×4, first 2 shown]
.LBB0_19:
	s_or_b32 exec_lo, exec_lo, s1
	s_waitcnt lgkmcnt(5)
	v_mul_f64 v[72:73], v[58:59], v[26:27]
	v_mul_f64 v[58:59], v[58:59], v[24:25]
	s_waitcnt lgkmcnt(3)
	v_mul_f64 v[74:75], v[54:55], v[30:31]
	v_mul_f64 v[54:55], v[54:55], v[28:29]
	s_waitcnt lgkmcnt(1)
	v_mul_f64 v[76:77], v[50:51], v[34:35]
	v_mul_f64 v[50:51], v[50:51], v[32:33]
	v_mul_f64 v[78:79], v[62:63], v[14:15]
	v_mul_f64 v[62:63], v[62:63], v[12:13]
	;; [unrolled: 1-line block ×4, first 2 shown]
	s_waitcnt lgkmcnt(0)
	v_mul_f64 v[82:83], v[66:67], v[22:23]
	v_mul_f64 v[66:67], v[66:67], v[20:21]
	v_fma_f64 v[24:25], v[56:57], v[24:25], v[72:73]
	v_fma_f64 v[26:27], v[56:57], v[26:27], -v[58:59]
	v_fma_f64 v[28:29], v[52:53], v[28:29], v[74:75]
	v_fma_f64 v[30:31], v[52:53], v[30:31], -v[54:55]
	;; [unrolled: 2-line block ×6, first 2 shown]
	v_add_f64 v[28:29], v[4:5], -v[28:29]
	v_add_f64 v[30:31], v[6:7], -v[30:31]
	v_add_f64 v[32:33], v[24:25], -v[32:33]
	v_add_f64 v[34:35], v[26:27], -v[34:35]
	v_add_f64 v[48:49], v[8:9], -v[16:17]
	v_add_f64 v[50:51], v[10:11], -v[18:19]
	v_add_f64 v[16:17], v[12:13], -v[20:21]
	v_add_f64 v[18:19], v[14:15], -v[22:23]
	v_fma_f64 v[52:53], v[4:5], 2.0, -v[28:29]
	v_fma_f64 v[54:55], v[6:7], 2.0, -v[30:31]
	;; [unrolled: 1-line block ×4, first 2 shown]
	v_add_f64 v[4:5], v[28:29], v[34:35]
	v_add_f64 v[6:7], v[30:31], -v[32:33]
	v_fma_f64 v[56:57], v[8:9], 2.0, -v[48:49]
	v_fma_f64 v[58:59], v[10:11], 2.0, -v[50:51]
	;; [unrolled: 1-line block ×4, first 2 shown]
	v_add_f64 v[8:9], v[48:49], v[18:19]
	v_add_f64 v[10:11], v[50:51], -v[16:17]
	v_add_f64 v[12:13], v[52:53], -v[20:21]
	;; [unrolled: 1-line block ×3, first 2 shown]
	v_fma_f64 v[20:21], v[28:29], 2.0, -v[4:5]
	v_fma_f64 v[22:23], v[30:31], 2.0, -v[6:7]
	v_add_f64 v[16:17], v[56:57], -v[24:25]
	v_add_f64 v[18:19], v[58:59], -v[26:27]
	v_fma_f64 v[24:25], v[48:49], 2.0, -v[8:9]
	v_fma_f64 v[26:27], v[50:51], 2.0, -v[10:11]
	;; [unrolled: 1-line block ×6, first 2 shown]
	ds_write_b128 v253, v[4:7] offset:5616
	ds_write_b128 v253, v[20:23] offset:1872
	;; [unrolled: 1-line block ×5, first 2 shown]
	ds_write_b128 v253, v[28:31]
	ds_write_b128 v253, v[32:35] offset:832
	ds_write_b128 v253, v[8:11] offset:6448
	s_and_saveexec_b32 s1, s0
	s_cbranch_execz .LBB0_21
; %bb.20:
	v_mul_f64 v[4:5], v[42:43], v[112:113]
	v_mul_f64 v[6:7], v[46:47], v[130:131]
	;; [unrolled: 1-line block ×6, first 2 shown]
	v_fma_f64 v[4:5], v[40:41], v[114:115], -v[4:5]
	v_fma_f64 v[6:7], v[44:45], v[128:129], v[6:7]
	v_fma_f64 v[8:9], v[44:45], v[130:131], -v[8:9]
	v_fma_f64 v[10:11], v[36:37], v[102:103], -v[10:11]
	v_fma_f64 v[12:13], v[40:41], v[112:113], v[12:13]
	v_fma_f64 v[14:15], v[36:37], v[100:101], v[14:15]
	v_add_f64 v[16:17], v[2:3], -v[4:5]
	v_add_f64 v[4:5], v[8:9], -v[10:11]
	;; [unrolled: 1-line block ×4, first 2 shown]
	v_fma_f64 v[14:15], v[2:3], 2.0, -v[16:17]
	v_fma_f64 v[8:9], v[8:9], 2.0, -v[4:5]
	;; [unrolled: 1-line block ×4, first 2 shown]
	v_add_f64 v[2:3], v[16:17], -v[10:11]
	v_add_f64 v[0:1], v[12:13], v[4:5]
	v_add_f64 v[6:7], v[14:15], -v[8:9]
	v_add_f64 v[4:5], v[18:19], -v[20:21]
	v_fma_f64 v[10:11], v[16:17], 2.0, -v[2:3]
	v_fma_f64 v[8:9], v[12:13], 2.0, -v[0:1]
	;; [unrolled: 1-line block ×4, first 2 shown]
	ds_write_b128 v253, v[8:11] offset:3536
	ds_write_b128 v253, v[4:7] offset:5408
	ds_write_b128 v253, v[12:15] offset:1664
	ds_write_b128 v253, v[0:3] offset:7280
.LBB0_21:
	s_or_b32 exec_lo, exec_lo, s1
	s_waitcnt lgkmcnt(0)
	s_barrier
	buffer_gl0_inv
	s_and_b32 exec_lo, exec_lo, vcc_lo
	s_cbranch_execz .LBB0_23
; %bb.22:
	v_add_co_u32 v36, s0, s14, v253
	v_add_co_ci_u32_e64 v37, null, s15, 0, s0
	s_clause 0x3
	global_load_dwordx4 v[0:3], v253, s[14:15]
	global_load_dwordx4 v[4:7], v253, s[14:15] offset:576
	global_load_dwordx4 v[8:11], v253, s[14:15] offset:1152
	;; [unrolled: 1-line block ×3, first 2 shown]
	v_add_co_u32 v28, vcc_lo, 0x800, v36
	v_add_co_ci_u32_e32 v29, vcc_lo, 0, v37, vcc_lo
	v_add_co_u32 v40, vcc_lo, 0x1000, v36
	v_add_co_ci_u32_e32 v41, vcc_lo, 0, v37, vcc_lo
	v_add_co_u32 v100, vcc_lo, 0x1800, v36
	s_clause 0x4
	global_load_dwordx4 v[16:19], v[28:29], off offset:256
	global_load_dwordx4 v[20:23], v[28:29], off offset:832
	;; [unrolled: 1-line block ×5, first 2 shown]
	v_add_co_ci_u32_e32 v101, vcc_lo, 0, v37, vcc_lo
	s_clause 0x2
	global_load_dwordx4 v[36:39], v[40:41], off offset:1088
	global_load_dwordx4 v[40:43], v[40:41], off offset:1664
	;; [unrolled: 1-line block ×3, first 2 shown]
	v_mad_u64_u32 v[48:49], null, s6, v136, 0
	v_mad_u64_u32 v[50:51], null, s4, v254, 0
	s_mul_i32 s0, s5, 0x240
	s_mul_hi_u32 s1, s4, 0x240
	s_mul_i32 s2, s4, 0x240
	s_add_i32 s3, s1, s0
	s_mov_b32 s0, 0x11811812
	s_mov_b32 s1, 0x3f618118
	v_mad_u64_u32 v[52:53], null, s7, v136, v[49:50]
	v_mad_u64_u32 v[53:54], null, s5, v254, v[51:52]
	v_mov_b32_e32 v49, v52
	v_lshlrev_b64 v[48:49], 4, v[48:49]
	v_mov_b32_e32 v51, v53
	v_lshlrev_b64 v[50:51], 4, v[50:51]
	v_add_co_u32 v48, vcc_lo, s12, v48
	v_add_co_ci_u32_e32 v49, vcc_lo, s13, v49, vcc_lo
	v_add_co_u32 v102, vcc_lo, v48, v50
	v_add_co_ci_u32_e32 v103, vcc_lo, v49, v51, vcc_lo
	ds_read_b128 v[48:51], v253
	ds_read_b128 v[52:55], v253 offset:576
	ds_read_b128 v[56:59], v253 offset:1152
	ds_read_b128 v[60:63], v253 offset:1728
	ds_read_b128 v[64:67], v253 offset:2304
	ds_read_b128 v[68:71], v253 offset:2880
	ds_read_b128 v[72:75], v253 offset:3456
	ds_read_b128 v[76:79], v253 offset:4032
	ds_read_b128 v[80:83], v253 offset:4608
	ds_read_b128 v[84:87], v253 offset:5184
	ds_read_b128 v[88:91], v253 offset:5760
	ds_read_b128 v[92:95], v253 offset:6336
	v_add_co_u32 v104, vcc_lo, v102, s2
	v_add_co_ci_u32_e32 v105, vcc_lo, s3, v103, vcc_lo
	ds_read_b128 v[96:99], v253 offset:6912
	v_add_co_u32 v106, vcc_lo, v104, s2
	v_add_co_ci_u32_e32 v107, vcc_lo, s3, v105, vcc_lo
	v_add_co_u32 v108, vcc_lo, v106, s2
	v_add_co_ci_u32_e32 v109, vcc_lo, s3, v107, vcc_lo
	;; [unrolled: 2-line block ×8, first 2 shown]
	s_waitcnt vmcnt(11) lgkmcnt(12)
	v_mul_f64 v[122:123], v[50:51], v[2:3]
	v_mul_f64 v[2:3], v[48:49], v[2:3]
	s_waitcnt vmcnt(10) lgkmcnt(11)
	v_mul_f64 v[124:125], v[54:55], v[6:7]
	v_mul_f64 v[6:7], v[52:53], v[6:7]
	s_waitcnt vmcnt(9) lgkmcnt(10)
	v_mul_f64 v[126:127], v[58:59], v[10:11]
	v_mul_f64 v[10:11], v[56:57], v[10:11]
	s_waitcnt vmcnt(8) lgkmcnt(9)
	v_mul_f64 v[128:129], v[62:63], v[14:15]
	v_mul_f64 v[14:15], v[60:61], v[14:15]
	s_waitcnt vmcnt(7) lgkmcnt(8)
	v_mul_f64 v[130:131], v[66:67], v[18:19]
	v_mul_f64 v[18:19], v[64:65], v[18:19]
	s_waitcnt vmcnt(6) lgkmcnt(7)
	v_mul_f64 v[132:133], v[70:71], v[22:23]
	v_mul_f64 v[22:23], v[68:69], v[22:23]
	s_waitcnt vmcnt(5) lgkmcnt(6)
	v_mul_f64 v[134:135], v[74:75], v[26:27]
	v_mul_f64 v[26:27], v[72:73], v[26:27]
	s_waitcnt vmcnt(4) lgkmcnt(5)
	v_mul_f64 v[136:137], v[78:79], v[30:31]
	v_mul_f64 v[30:31], v[76:77], v[30:31]
	s_waitcnt vmcnt(3) lgkmcnt(4)
	v_mul_f64 v[138:139], v[82:83], v[34:35]
	v_mul_f64 v[34:35], v[80:81], v[34:35]
	s_waitcnt vmcnt(2) lgkmcnt(3)
	v_mul_f64 v[140:141], v[86:87], v[38:39]
	v_mul_f64 v[38:39], v[84:85], v[38:39]
	s_waitcnt vmcnt(1) lgkmcnt(2)
	v_mul_f64 v[142:143], v[90:91], v[42:43]
	v_mul_f64 v[42:43], v[88:89], v[42:43]
	s_waitcnt vmcnt(0) lgkmcnt(1)
	v_mul_f64 v[144:145], v[94:95], v[46:47]
	v_mul_f64 v[46:47], v[92:93], v[46:47]
	v_fma_f64 v[48:49], v[48:49], v[0:1], v[122:123]
	v_fma_f64 v[2:3], v[0:1], v[50:51], -v[2:3]
	v_fma_f64 v[50:51], v[52:53], v[4:5], v[124:125]
	v_fma_f64 v[6:7], v[4:5], v[54:55], -v[6:7]
	;; [unrolled: 2-line block ×12, first 2 shown]
	v_mul_f64 v[0:1], v[48:49], s[0:1]
	v_mul_f64 v[2:3], v[2:3], s[0:1]
	;; [unrolled: 1-line block ×24, first 2 shown]
	v_add_co_u32 v48, vcc_lo, v120, s2
	v_add_co_ci_u32_e32 v49, vcc_lo, s3, v121, vcc_lo
	v_add_co_u32 v50, vcc_lo, v48, s2
	v_add_co_ci_u32_e32 v51, vcc_lo, s3, v49, vcc_lo
	global_store_dwordx4 v[102:103], v[0:3], off
	global_store_dwordx4 v[104:105], v[4:7], off
	;; [unrolled: 1-line block ×12, first 2 shown]
	global_load_dwordx4 v[0:3], v[100:101], off offset:768
	s_waitcnt vmcnt(0) lgkmcnt(0)
	v_mul_f64 v[4:5], v[98:99], v[2:3]
	v_mul_f64 v[2:3], v[96:97], v[2:3]
	v_fma_f64 v[4:5], v[96:97], v[0:1], v[4:5]
	v_fma_f64 v[2:3], v[0:1], v[98:99], -v[2:3]
	v_mul_f64 v[0:1], v[4:5], s[0:1]
	v_mul_f64 v[2:3], v[2:3], s[0:1]
	v_add_co_u32 v4, vcc_lo, v50, s2
	v_add_co_ci_u32_e32 v5, vcc_lo, s3, v51, vcc_lo
	global_store_dwordx4 v[4:5], v[0:3], off
.LBB0_23:
	s_endpgm
	.section	.rodata,"a",@progbits
	.p2align	6, 0x0
	.amdhsa_kernel bluestein_single_fwd_len468_dim1_dp_op_CI_CI
		.amdhsa_group_segment_fixed_size 7488
		.amdhsa_private_segment_fixed_size 12
		.amdhsa_kernarg_size 104
		.amdhsa_user_sgpr_count 6
		.amdhsa_user_sgpr_private_segment_buffer 1
		.amdhsa_user_sgpr_dispatch_ptr 0
		.amdhsa_user_sgpr_queue_ptr 0
		.amdhsa_user_sgpr_kernarg_segment_ptr 1
		.amdhsa_user_sgpr_dispatch_id 0
		.amdhsa_user_sgpr_flat_scratch_init 0
		.amdhsa_user_sgpr_private_segment_size 0
		.amdhsa_wavefront_size32 1
		.amdhsa_uses_dynamic_stack 0
		.amdhsa_system_sgpr_private_segment_wavefront_offset 1
		.amdhsa_system_sgpr_workgroup_id_x 1
		.amdhsa_system_sgpr_workgroup_id_y 0
		.amdhsa_system_sgpr_workgroup_id_z 0
		.amdhsa_system_sgpr_workgroup_info 0
		.amdhsa_system_vgpr_workitem_id 0
		.amdhsa_next_free_vgpr 256
		.amdhsa_next_free_sgpr 52
		.amdhsa_reserve_vcc 1
		.amdhsa_reserve_flat_scratch 0
		.amdhsa_float_round_mode_32 0
		.amdhsa_float_round_mode_16_64 0
		.amdhsa_float_denorm_mode_32 3
		.amdhsa_float_denorm_mode_16_64 3
		.amdhsa_dx10_clamp 1
		.amdhsa_ieee_mode 1
		.amdhsa_fp16_overflow 0
		.amdhsa_workgroup_processor_mode 1
		.amdhsa_memory_ordered 1
		.amdhsa_forward_progress 0
		.amdhsa_shared_vgpr_count 0
		.amdhsa_exception_fp_ieee_invalid_op 0
		.amdhsa_exception_fp_denorm_src 0
		.amdhsa_exception_fp_ieee_div_zero 0
		.amdhsa_exception_fp_ieee_overflow 0
		.amdhsa_exception_fp_ieee_underflow 0
		.amdhsa_exception_fp_ieee_inexact 0
		.amdhsa_exception_int_div_zero 0
	.end_amdhsa_kernel
	.text
.Lfunc_end0:
	.size	bluestein_single_fwd_len468_dim1_dp_op_CI_CI, .Lfunc_end0-bluestein_single_fwd_len468_dim1_dp_op_CI_CI
                                        ; -- End function
	.section	.AMDGPU.csdata,"",@progbits
; Kernel info:
; codeLenInByte = 17012
; NumSgprs: 54
; NumVgprs: 256
; ScratchSize: 12
; MemoryBound: 0
; FloatMode: 240
; IeeeMode: 1
; LDSByteSize: 7488 bytes/workgroup (compile time only)
; SGPRBlocks: 6
; VGPRBlocks: 31
; NumSGPRsForWavesPerEU: 54
; NumVGPRsForWavesPerEU: 256
; Occupancy: 4
; WaveLimiterHint : 1
; COMPUTE_PGM_RSRC2:SCRATCH_EN: 1
; COMPUTE_PGM_RSRC2:USER_SGPR: 6
; COMPUTE_PGM_RSRC2:TRAP_HANDLER: 0
; COMPUTE_PGM_RSRC2:TGID_X_EN: 1
; COMPUTE_PGM_RSRC2:TGID_Y_EN: 0
; COMPUTE_PGM_RSRC2:TGID_Z_EN: 0
; COMPUTE_PGM_RSRC2:TIDIG_COMP_CNT: 0
	.text
	.p2alignl 6, 3214868480
	.fill 48, 4, 3214868480
	.type	__hip_cuid_aaccf6e2555084d,@object ; @__hip_cuid_aaccf6e2555084d
	.section	.bss,"aw",@nobits
	.globl	__hip_cuid_aaccf6e2555084d
__hip_cuid_aaccf6e2555084d:
	.byte	0                               ; 0x0
	.size	__hip_cuid_aaccf6e2555084d, 1

	.ident	"AMD clang version 19.0.0git (https://github.com/RadeonOpenCompute/llvm-project roc-6.4.0 25133 c7fe45cf4b819c5991fe208aaa96edf142730f1d)"
	.section	".note.GNU-stack","",@progbits
	.addrsig
	.addrsig_sym __hip_cuid_aaccf6e2555084d
	.amdgpu_metadata
---
amdhsa.kernels:
  - .args:
      - .actual_access:  read_only
        .address_space:  global
        .offset:         0
        .size:           8
        .value_kind:     global_buffer
      - .actual_access:  read_only
        .address_space:  global
        .offset:         8
        .size:           8
        .value_kind:     global_buffer
      - .actual_access:  read_only
        .address_space:  global
        .offset:         16
        .size:           8
        .value_kind:     global_buffer
      - .actual_access:  read_only
        .address_space:  global
        .offset:         24
        .size:           8
        .value_kind:     global_buffer
      - .actual_access:  read_only
        .address_space:  global
        .offset:         32
        .size:           8
        .value_kind:     global_buffer
      - .offset:         40
        .size:           8
        .value_kind:     by_value
      - .address_space:  global
        .offset:         48
        .size:           8
        .value_kind:     global_buffer
      - .address_space:  global
        .offset:         56
        .size:           8
        .value_kind:     global_buffer
      - .address_space:  global
        .offset:         64
        .size:           8
        .value_kind:     global_buffer
      - .address_space:  global
        .offset:         72
        .size:           8
        .value_kind:     global_buffer
      - .offset:         80
        .size:           4
        .value_kind:     by_value
      - .address_space:  global
        .offset:         88
        .size:           8
        .value_kind:     global_buffer
      - .address_space:  global
        .offset:         96
        .size:           8
        .value_kind:     global_buffer
    .group_segment_fixed_size: 7488
    .kernarg_segment_align: 8
    .kernarg_segment_size: 104
    .language:       OpenCL C
    .language_version:
      - 2
      - 0
    .max_flat_workgroup_size: 52
    .name:           bluestein_single_fwd_len468_dim1_dp_op_CI_CI
    .private_segment_fixed_size: 12
    .sgpr_count:     54
    .sgpr_spill_count: 0
    .symbol:         bluestein_single_fwd_len468_dim1_dp_op_CI_CI.kd
    .uniform_work_group_size: 1
    .uses_dynamic_stack: false
    .vgpr_count:     256
    .vgpr_spill_count: 2
    .wavefront_size: 32
    .workgroup_processor_mode: 1
amdhsa.target:   amdgcn-amd-amdhsa--gfx1030
amdhsa.version:
  - 1
  - 2
...

	.end_amdgpu_metadata
